;; amdgpu-corpus repo=ROCm/rocFFT kind=compiled arch=gfx1100 opt=O3
	.text
	.amdgcn_target "amdgcn-amd-amdhsa--gfx1100"
	.amdhsa_code_object_version 6
	.protected	bluestein_single_fwd_len714_dim1_dp_op_CI_CI ; -- Begin function bluestein_single_fwd_len714_dim1_dp_op_CI_CI
	.globl	bluestein_single_fwd_len714_dim1_dp_op_CI_CI
	.p2align	8
	.type	bluestein_single_fwd_len714_dim1_dp_op_CI_CI,@function
bluestein_single_fwd_len714_dim1_dp_op_CI_CI: ; @bluestein_single_fwd_len714_dim1_dp_op_CI_CI
; %bb.0:
	s_load_b128 s[8:11], s[0:1], 0x28
	v_mul_u32_u24_e32 v1, 0x506, v0
	s_mov_b32 s2, exec_lo
	v_mov_b32_e32 v8, 0
	s_delay_alu instid0(VALU_DEP_2) | instskip(NEXT) | instid1(VALU_DEP_1)
	v_lshrrev_b32_e32 v1, 16, v1
	v_add_nc_u32_e32 v7, s15, v1
	s_waitcnt lgkmcnt(0)
	s_delay_alu instid0(VALU_DEP_1)
	v_cmpx_gt_u64_e64 s[8:9], v[7:8]
	s_cbranch_execz .LBB0_23
; %bb.1:
	s_clause 0x1
	s_load_b128 s[4:7], s[0:1], 0x18
	s_load_b64 s[2:3], s[0:1], 0x0
	v_mul_lo_u16 v1, v1, 51
	v_mov_b32_e32 v5, v7
	s_delay_alu instid0(VALU_DEP_2) | instskip(NEXT) | instid1(VALU_DEP_1)
	v_sub_nc_u16 v2, v0, v1
	v_and_b32_e32 v240, 0xffff, v2
	s_delay_alu instid0(VALU_DEP_1)
	v_lshlrev_b32_e32 v255, 4, v240
	s_waitcnt lgkmcnt(0)
	s_load_b128 s[12:15], s[4:5], 0x0
	s_clause 0x4
	global_load_b128 v[104:107], v255, s[2:3] offset:3808
	global_load_b128 v[108:111], v255, s[2:3]
	global_load_b128 v[112:115], v255, s[2:3] offset:816
	global_load_b128 v[116:119], v255, s[2:3] offset:1632
	;; [unrolled: 1-line block ×3, first 2 shown]
	scratch_store_b64 off, v[5:6], off offset:48 ; 8-byte Folded Spill
	s_waitcnt lgkmcnt(0)
	v_mad_u64_u32 v[0:1], null, s14, v7, 0
	v_mad_u64_u32 v[3:4], null, s12, v240, 0
	s_mul_hi_u32 s5, s12, 0xee
	s_mul_hi_u32 s9, s12, 0xfffffe57
	s_mul_i32 s8, s13, 0xfffffe57
	s_delay_alu instid0(VALU_DEP_2) | instskip(NEXT) | instid1(VALU_DEP_1)
	v_mad_u64_u32 v[5:6], null, s15, v7, v[1:2]
	v_mad_u64_u32 v[6:7], null, s13, v240, v[4:5]
	v_mov_b32_e32 v1, v5
	s_delay_alu instid0(VALU_DEP_1) | instskip(NEXT) | instid1(VALU_DEP_3)
	v_lshlrev_b64 v[0:1], 4, v[0:1]
	v_mov_b32_e32 v4, v6
	v_add_co_u32 v132, s4, s2, v255
	s_delay_alu instid0(VALU_DEP_1) | instskip(NEXT) | instid1(VALU_DEP_3)
	v_add_co_ci_u32_e64 v133, null, s3, 0, s4
	v_lshlrev_b64 v[3:4], 4, v[3:4]
	s_delay_alu instid0(VALU_DEP_3) | instskip(NEXT) | instid1(VALU_DEP_3)
	v_add_co_u32 v45, vcc_lo, 0x1000, v132
	v_add_co_ci_u32_e32 v46, vcc_lo, 0, v133, vcc_lo
	v_add_co_u32 v134, vcc_lo, 0x2000, v132
	v_add_co_ci_u32_e32 v135, vcc_lo, 0, v133, vcc_lo
	;; [unrolled: 2-line block ×3, first 2 shown]
	s_mul_i32 s3, s13, 0xee
	s_delay_alu instid0(VALU_DEP_2)
	v_add_co_u32 v0, vcc_lo, v0, v3
	s_mul_i32 s2, s12, 0xee
	s_add_i32 s3, s5, s3
	v_add_co_ci_u32_e32 v1, vcc_lo, v1, v4, vcc_lo
	s_lshl_b64 s[10:11], s[2:3], 4
	s_sub_i32 s5, s9, s12
	v_add_co_u32 v7, vcc_lo, v0, s10
	s_delay_alu instid0(VALU_DEP_2) | instskip(SKIP_1) | instid1(VALU_DEP_2)
	v_add_co_ci_u32_e32 v8, vcc_lo, s11, v1, vcc_lo
	s_mul_i32 s4, s12, 0xfffffe57
	v_add_co_u32 v11, vcc_lo, v7, s10
	s_add_i32 s5, s5, s8
	s_delay_alu instid0(VALU_DEP_2)
	v_add_co_ci_u32_e32 v12, vcc_lo, s11, v8, vcc_lo
	s_lshl_b64 s[2:3], s[4:5], 4
	global_load_b128 v[140:143], v[45:46], off offset:3520
	v_add_co_u32 v15, vcc_lo, v11, s2
	v_add_co_ci_u32_e32 v16, vcc_lo, s3, v12, vcc_lo
	s_clause 0x3
	global_load_b128 v[136:139], v[45:46], off offset:528
	global_load_b128 v[124:127], v[45:46], off offset:1344
	;; [unrolled: 1-line block ×4, first 2 shown]
	s_clause 0x1
	global_load_b128 v[3:6], v[0:1], off
	global_load_b128 v[7:10], v[7:8], off
	v_add_co_u32 v0, vcc_lo, v15, s10
	v_add_co_ci_u32_e32 v1, vcc_lo, s11, v16, vcc_lo
	s_clause 0x1
	global_load_b128 v[11:14], v[11:12], off
	global_load_b128 v[15:18], v[15:16], off
	v_add_co_u32 v23, vcc_lo, v0, s10
	v_add_co_ci_u32_e32 v24, vcc_lo, s11, v1, vcc_lo
	global_load_b128 v[19:22], v[0:1], off
	v_add_co_u32 v0, vcc_lo, v23, s2
	v_add_co_ci_u32_e32 v1, vcc_lo, s3, v24, vcc_lo
	scratch_store_b64 off, v[45:46], off offset:256 ; 8-byte Folded Spill
	v_add_co_u32 v31, vcc_lo, v0, s10
	v_add_co_ci_u32_e32 v32, vcc_lo, s11, v1, vcc_lo
	global_load_b128 v[27:30], v[0:1], off
	v_add_co_u32 v0, vcc_lo, v31, s10
	v_add_co_ci_u32_e32 v1, vcc_lo, s11, v32, vcc_lo
	global_load_b128 v[31:34], v[31:32], off
	;; [unrolled: 3-line block ×5, first 2 shown]
	global_load_b128 v[148:151], v[45:46], off offset:2160
	global_load_b128 v[48:51], v[43:44], off
	global_load_b128 v[43:46], v[134:135], off offset:1872
	global_load_b128 v[52:55], v[0:1], off
	v_cmp_gt_u16_e32 vcc_lo, 34, v2
	s_waitcnt vmcnt(23)
	scratch_store_b128 off, v[104:107], off ; 16-byte Folded Spill
	s_waitcnt vmcnt(22)
	scratch_store_b128 off, v[108:111], off offset:16 ; 16-byte Folded Spill
	s_waitcnt vmcnt(21)
	scratch_store_b128 off, v[112:115], off offset:32 ; 16-byte Folded Spill
	;; [unrolled: 2-line block ×8, first 2 shown]
	s_waitcnt vmcnt(13)
	v_mul_f64 v[56:57], v[5:6], v[110:111]
	v_mul_f64 v[58:59], v[3:4], v[110:111]
	s_waitcnt vmcnt(12)
	v_mul_f64 v[60:61], v[9:10], v[106:107]
	v_mul_f64 v[62:63], v[7:8], v[106:107]
	s_waitcnt vmcnt(11)
	v_mul_f64 v[64:65], v[13:14], v[142:143]
	s_waitcnt vmcnt(10)
	v_mul_f64 v[68:69], v[17:18], v[114:115]
	v_mul_f64 v[70:71], v[15:16], v[114:115]
	;; [unrolled: 1-line block ×3, first 2 shown]
	scratch_store_b128 off, v[124:127], off offset:88 ; 16-byte Folded Spill
	s_waitcnt vmcnt(9)
	v_mul_f64 v[72:73], v[21:22], v[138:139]
	v_mul_f64 v[74:75], v[19:20], v[138:139]
	s_waitcnt vmcnt(8)
	v_mul_f64 v[80:81], v[29:30], v[118:119]
	v_mul_f64 v[82:83], v[27:28], v[118:119]
	;; [unrolled: 3-line block ×5, first 2 shown]
	v_fma_f64 v[3:4], v[3:4], v[108:109], v[56:57]
	s_waitcnt vmcnt(2)
	v_mul_f64 v[96:97], v[50:51], v[150:151]
	v_mul_f64 v[98:99], v[48:49], v[150:151]
	s_waitcnt vmcnt(0)
	v_mul_f64 v[100:101], v[54:55], v[45:46]
	v_mul_f64 v[102:103], v[52:53], v[45:46]
	;; [unrolled: 1-line block ×4, first 2 shown]
	v_fma_f64 v[5:6], v[5:6], v[108:109], -v[58:59]
	v_fma_f64 v[15:16], v[15:16], v[112:113], v[68:69]
	v_fma_f64 v[17:18], v[17:18], v[112:113], -v[70:71]
	v_fma_f64 v[7:8], v[7:8], v[104:105], v[60:61]
	;; [unrolled: 2-line block ×4, first 2 shown]
	v_fma_f64 v[13:14], v[13:14], v[140:141], -v[66:67]
	s_clause 0x1
	scratch_store_b128 off, v[148:151], off offset:168
	scratch_store_b128 off, v[43:46], off offset:184
	s_load_b64 s[8:9], s[0:1], 0x38
	s_load_b128 s[4:7], s[6:7], 0x0
	v_fma_f64 v[27:28], v[27:28], v[116:117], v[80:81]
	v_fma_f64 v[29:30], v[29:30], v[116:117], -v[82:83]
	v_fma_f64 v[31:32], v[31:32], v[124:125], v[84:85]
	v_fma_f64 v[33:34], v[33:34], v[124:125], -v[86:87]
	;; [unrolled: 2-line block ×7, first 2 shown]
	ds_store_b128 v255, v[3:6]
	ds_store_b128 v255, v[15:18] offset:816
	ds_store_b128 v255, v[7:10] offset:3808
	;; [unrolled: 1-line block ×11, first 2 shown]
	s_and_saveexec_b32 s12, vcc_lo
	s_cbranch_execz .LBB0_3
; %bb.2:
	v_add_co_u32 v0, s2, v0, s2
	s_delay_alu instid0(VALU_DEP_1) | instskip(NEXT) | instid1(VALU_DEP_2)
	v_add_co_ci_u32_e64 v1, s2, s3, v1, s2
	v_add_co_u32 v8, s2, v0, s10
	s_delay_alu instid0(VALU_DEP_1) | instskip(SKIP_2) | instid1(VALU_DEP_1)
	v_add_co_ci_u32_e64 v9, s2, s11, v1, s2
	global_load_b128 v[0:3], v[0:1], off
	v_add_co_u32 v20, s2, v8, s10
	v_add_co_ci_u32_e64 v21, s2, s11, v9, s2
	global_load_b128 v[4:7], v[132:133], off offset:3264
	global_load_b128 v[8:11], v[8:9], off
	scratch_load_b64 v[12:13], off, off offset:256 ; 8-byte Folded Reload
	s_waitcnt vmcnt(0)
	s_clause 0x1
	global_load_b128 v[12:15], v[12:13], off offset:2976
	global_load_b128 v[16:19], v[134:135], off offset:2688
	global_load_b128 v[20:23], v[20:21], off
	v_mul_f64 v[24:25], v[2:3], v[6:7]
	v_mul_f64 v[6:7], v[0:1], v[6:7]
	s_delay_alu instid0(VALU_DEP_2) | instskip(NEXT) | instid1(VALU_DEP_2)
	v_fma_f64 v[0:1], v[0:1], v[4:5], v[24:25]
	v_fma_f64 v[2:3], v[2:3], v[4:5], -v[6:7]
	s_waitcnt vmcnt(2)
	v_mul_f64 v[26:27], v[10:11], v[14:15]
	v_mul_f64 v[14:15], v[8:9], v[14:15]
	s_waitcnt vmcnt(0)
	v_mul_f64 v[28:29], v[22:23], v[18:19]
	v_mul_f64 v[18:19], v[20:21], v[18:19]
	s_delay_alu instid0(VALU_DEP_4) | instskip(NEXT) | instid1(VALU_DEP_4)
	v_fma_f64 v[4:5], v[8:9], v[12:13], v[26:27]
	v_fma_f64 v[6:7], v[10:11], v[12:13], -v[14:15]
	s_delay_alu instid0(VALU_DEP_4) | instskip(NEXT) | instid1(VALU_DEP_4)
	v_fma_f64 v[8:9], v[20:21], v[16:17], v[28:29]
	v_fma_f64 v[10:11], v[22:23], v[16:17], -v[18:19]
	ds_store_b128 v255, v[0:3] offset:3264
	ds_store_b128 v255, v[4:7] offset:7072
	;; [unrolled: 1-line block ×3, first 2 shown]
.LBB0_3:
	s_or_b32 exec_lo, exec_lo, s12
	s_waitcnt lgkmcnt(0)
	s_waitcnt_vscnt null, 0x0
	s_barrier
	buffer_gl0_inv
	ds_load_b128 v[72:75], v255
	ds_load_b128 v[60:63], v255 offset:816
	ds_load_b128 v[92:95], v255 offset:3808
	;; [unrolled: 1-line block ×11, first 2 shown]
                                        ; implicit-def: $vgpr80_vgpr81
                                        ; implicit-def: $vgpr104_vgpr105
                                        ; implicit-def: $vgpr100_vgpr101
	s_and_saveexec_b32 s2, vcc_lo
	s_cbranch_execz .LBB0_5
; %bb.4:
	ds_load_b128 v[80:83], v255 offset:3264
	ds_load_b128 v[104:107], v255 offset:7072
	;; [unrolled: 1-line block ×3, first 2 shown]
.LBB0_5:
	s_or_b32 exec_lo, exec_lo, s2
	s_waitcnt lgkmcnt(7)
	v_add_f64 v[0:1], v[92:93], v[52:53]
	v_add_f64 v[2:3], v[94:95], v[54:55]
	s_waitcnt lgkmcnt(6)
	v_add_f64 v[4:5], v[84:85], v[48:49]
	v_add_f64 v[6:7], v[86:87], v[50:51]
	s_waitcnt lgkmcnt(1)
	v_add_f64 v[8:9], v[96:97], v[64:65]
	v_add_f64 v[10:11], v[98:99], v[66:67]
	s_waitcnt lgkmcnt(0)
	v_add_f64 v[12:13], v[88:89], v[56:57]
	v_add_f64 v[14:15], v[90:91], v[58:59]
	v_add_f64 v[16:17], v[104:105], v[100:101]
	v_add_f64 v[18:19], v[106:107], v[102:103]
	v_add_f64 v[20:21], v[72:73], v[92:93]
	v_add_f64 v[22:23], v[94:95], -v[54:55]
	v_add_f64 v[24:25], v[74:75], v[94:95]
	v_add_f64 v[26:27], v[60:61], v[84:85]
	;; [unrolled: 1-line block ×9, first 2 shown]
	v_add_f64 v[42:43], v[92:93], -v[52:53]
	v_add_f64 v[92:93], v[98:99], -v[66:67]
	v_add_f64 v[110:111], v[104:105], -v[100:101]
	s_mov_b32 s2, 0xe8584caa
	s_mov_b32 s3, 0x3febb67a
	;; [unrolled: 1-line block ×4, first 2 shown]
	s_barrier
	buffer_gl0_inv
	v_fma_f64 v[0:1], v[0:1], -0.5, v[72:73]
	v_fma_f64 v[2:3], v[2:3], -0.5, v[74:75]
	v_add_f64 v[72:73], v[86:87], -v[50:51]
	v_fma_f64 v[4:5], v[4:5], -0.5, v[60:61]
	v_add_f64 v[74:75], v[84:85], -v[48:49]
	v_fma_f64 v[6:7], v[6:7], -0.5, v[62:63]
	v_fma_f64 v[8:9], v[8:9], -0.5, v[76:77]
	v_add_f64 v[76:77], v[96:97], -v[64:65]
	v_fma_f64 v[10:11], v[10:11], -0.5, v[78:79]
	v_add_f64 v[78:79], v[90:91], -v[58:59]
	;; [unrolled: 2-line block ×4, first 2 shown]
	v_fma_f64 v[16:17], v[16:17], -0.5, v[80:81]
	v_fma_f64 v[18:19], v[18:19], -0.5, v[82:83]
	v_add_f64 v[84:85], v[20:21], v[52:53]
	v_add_f64 v[86:87], v[24:25], v[54:55]
	v_add_f64 v[60:61], v[26:27], v[48:49]
	v_add_f64 v[62:63], v[28:29], v[50:51]
	v_add_f64 v[116:117], v[30:31], v[64:65]
	v_add_f64 v[118:119], v[32:33], v[66:67]
	v_add_f64 v[88:89], v[34:35], v[56:57]
	v_add_f64 v[90:91], v[36:37], v[58:59]
	v_add_f64 v[124:125], v[38:39], v[100:101]
	v_add_f64 v[126:127], v[40:41], v[102:103]
	v_fma_f64 v[64:65], v[22:23], s[2:3], v[0:1]
	v_fma_f64 v[52:53], v[22:23], s[10:11], v[0:1]
	;; [unrolled: 1-line block ×20, first 2 shown]
	s_load_b64 s[2:3], s[0:1], 0x8
	v_mul_lo_u16 v3, v240, 3
	v_add_nc_u32_e32 v0, 51, v240
	v_add_nc_u32_e32 v1, 0x66, v240
	;; [unrolled: 1-line block ×3, first 2 shown]
	v_add_co_u32 v4, null, 0xcc, v240
	v_and_b32_e32 v3, 0xffff, v3
	v_mul_u32_u24_e32 v0, 3, v0
	v_mul_u32_u24_e32 v1, 3, v1
	;; [unrolled: 1-line block ×3, first 2 shown]
	s_delay_alu instid0(VALU_DEP_4) | instskip(SKIP_1) | instid1(VALU_DEP_4)
	v_lshlrev_b32_e32 v5, 4, v3
	v_mul_u32_u24_e32 v3, 3, v4
	v_lshlrev_b32_e32 v1, 4, v1
	scratch_store_b32 off, v3, off offset:208 ; 4-byte Folded Spill
	v_lshlrev_b32_e32 v3, 4, v0
	v_lshlrev_b32_e32 v0, 4, v2
	ds_store_b128 v5, v[84:87]
	ds_store_b128 v5, v[64:67] offset:16
	scratch_store_b32 off, v5, off offset:240 ; 4-byte Folded Spill
	ds_store_b128 v5, v[52:55] offset:32
	ds_store_b128 v3, v[60:63]
	ds_store_b128 v3, v[80:83] offset:16
	scratch_store_b32 off, v3, off offset:248 ; 4-byte Folded Spill
	ds_store_b128 v3, v[100:103] offset:32
	;; [unrolled: 4-line block ×4, first 2 shown]
	s_and_saveexec_b32 s0, vcc_lo
	s_cbranch_execz .LBB0_7
; %bb.6:
	scratch_load_b32 v0, off, off offset:208 ; 4-byte Folded Reload
	s_waitcnt vmcnt(0)
	v_lshlrev_b32_e32 v0, 4, v0
	ds_store_b128 v0, v[124:127]
	ds_store_b128 v0, v[104:107] offset:16
	ds_store_b128 v0, v[108:111] offset:32
.LBB0_7:
	s_or_b32 exec_lo, exec_lo, s0
	v_cmp_gt_u16_e64 s0, 42, v240
	s_waitcnt lgkmcnt(0)
	s_waitcnt_vscnt null, 0x0
	s_barrier
	buffer_gl0_inv
                                        ; implicit-def: $vgpr76_vgpr77
                                        ; implicit-def: $vgpr128_vgpr129
	s_and_saveexec_b32 s1, s0
	s_cbranch_execz .LBB0_9
; %bb.8:
	ds_load_b128 v[84:87], v255
	ds_load_b128 v[64:67], v255 offset:672
	ds_load_b128 v[52:55], v255 offset:1344
	;; [unrolled: 1-line block ×16, first 2 shown]
.LBB0_9:
	s_or_b32 exec_lo, exec_lo, s1
	v_and_b32_e32 v0, 0xff, v240
	s_mov_b32 s18, 0x5d8e7cdc
	s_mov_b32 s19, 0xbfd71e95
	;; [unrolled: 1-line block ×4, first 2 shown]
	v_mul_lo_u16 v0, 0xab, v0
	s_mov_b32 s15, 0x3fedd6d0
	s_mov_b32 s13, 0xbfe58eea
	;; [unrolled: 1-line block ×4, first 2 shown]
	v_lshrrev_b16 v0, 9, v0
	s_mov_b32 s28, 0x7c9e640b
	s_mov_b32 s29, 0xbfeca52d
	;; [unrolled: 1-line block ×4, first 2 shown]
	scratch_store_b32 off, v0, off offset:200 ; 4-byte Folded Spill
	v_mul_lo_u16 v0, v0, 3
	s_mov_b32 s24, 0xeb564b22
	s_mov_b32 s25, 0xbfefdd0d
	;; [unrolled: 1-line block ×4, first 2 shown]
	v_sub_nc_u16 v0, v240, v0
	s_mov_b32 s46, 0x923c349f
	s_mov_b32 s47, 0x3feec746
	;; [unrolled: 1-line block ×4, first 2 shown]
	v_and_b32_e32 v0, 0xff, v0
	s_mov_b32 s22, 0xc61f0d01
	s_mov_b32 s23, 0xbfd183b1
	;; [unrolled: 1-line block ×4, first 2 shown]
	scratch_store_b32 off, v0, off offset:204 ; 4-byte Folded Spill
	v_lshlrev_b32_e32 v0, 8, v0
	s_mov_b32 s26, 0x6ed5f1bb
	s_mov_b32 s27, 0xbfe348c8
	s_clause 0x1
	global_load_b128 v[3:6], v0, s[2:3]
	global_load_b128 v[56:59], v0, s[2:3] offset:16
	s_mov_b32 s40, 0x4363dd80
	s_mov_b32 s41, 0x3fe0d888
	;; [unrolled: 1-line block ×18, first 2 shown]
	s_waitcnt vmcnt(1)
	scratch_store_b128 off, v[3:6], off offset:264 ; 16-byte Folded Spill
	s_clause 0x1
	global_load_b128 v[72:75], v0, s[2:3] offset:240
	global_load_b128 v[68:71], v0, s[2:3] offset:224
	s_waitcnt lgkmcnt(15)
	v_mul_f64 v[1:2], v[64:65], v[5:6]
	s_delay_alu instid0(VALU_DEP_1) | instskip(SKIP_1) | instid1(VALU_DEP_1)
	v_fma_f64 v[30:31], v[66:67], v[3:4], v[1:2]
	v_mul_f64 v[1:2], v[66:67], v[5:6]
	v_fma_f64 v[20:21], v[64:65], v[3:4], -v[1:2]
	s_clause 0x1
	global_load_b128 v[3:6], v0, s[2:3] offset:32
	global_load_b128 v[64:67], v0, s[2:3] offset:48
	s_waitcnt vmcnt(3) lgkmcnt(0)
	v_mul_f64 v[1:2], v[128:129], v[74:75]
	s_delay_alu instid0(VALU_DEP_1) | instskip(SKIP_1) | instid1(VALU_DEP_2)
	v_fma_f64 v[232:233], v[130:131], v[72:73], v[1:2]
	v_mul_f64 v[1:2], v[130:131], v[74:75]
	v_add_f64 v[32:33], v[30:31], v[232:233]
	s_delay_alu instid0(VALU_DEP_2)
	v_fma_f64 v[46:47], v[128:129], v[72:73], -v[1:2]
	v_mul_f64 v[1:2], v[52:53], v[58:59]
	s_waitcnt vmcnt(1)
	scratch_store_b128 off, v[3:6], off offset:280 ; 16-byte Folded Spill
	v_add_f64 v[34:35], v[20:21], -v[46:47]
	v_fma_f64 v[138:139], v[54:55], v[56:57], v[1:2]
	v_mul_f64 v[1:2], v[54:55], v[58:59]
	s_delay_alu instid0(VALU_DEP_3) | instskip(SKIP_1) | instid1(VALU_DEP_3)
	v_mul_f64 v[38:39], v[34:35], s[12:13]
	v_mul_f64 v[42:43], v[34:35], s[28:29]
	v_fma_f64 v[140:141], v[52:53], v[56:57], -v[1:2]
	v_mul_f64 v[1:2], v[76:77], v[70:71]
	s_delay_alu instid0(VALU_DEP_1) | instskip(SKIP_1) | instid1(VALU_DEP_1)
	v_fma_f64 v[7:8], v[78:79], v[68:69], v[1:2]
	v_mul_f64 v[1:2], v[78:79], v[70:71]
	v_fma_f64 v[136:137], v[76:77], v[68:69], -v[1:2]
	v_mul_f64 v[1:2], v[60:61], v[5:6]
	s_delay_alu instid0(VALU_DEP_2) | instskip(NEXT) | instid1(VALU_DEP_2)
	v_add_f64 v[196:197], v[140:141], v[136:137]
	v_fma_f64 v[142:143], v[62:63], v[3:4], v[1:2]
	v_mul_f64 v[1:2], v[62:63], v[5:6]
	v_add_f64 v[220:221], v[140:141], -v[136:137]
	s_delay_alu instid0(VALU_DEP_2)
	v_fma_f64 v[144:145], v[60:61], v[3:4], -v[1:2]
	s_clause 0x1
	global_load_b128 v[60:63], v0, s[2:3] offset:208
	global_load_b128 v[76:79], v0, s[2:3] offset:192
	v_mul_f64 v[4:5], v[220:221], s[12:13]
	s_waitcnt vmcnt(1)
	v_mul_f64 v[1:2], v[108:109], v[62:63]
	s_delay_alu instid0(VALU_DEP_1) | instskip(SKIP_1) | instid1(VALU_DEP_2)
	v_fma_f64 v[176:177], v[110:111], v[60:61], v[1:2]
	v_mul_f64 v[1:2], v[110:111], v[62:63]
	v_add_f64 v[247:248], v[142:143], -v[176:177]
	s_delay_alu instid0(VALU_DEP_2) | instskip(SKIP_2) | instid1(VALU_DEP_4)
	v_fma_f64 v[178:179], v[108:109], v[60:61], -v[1:2]
	v_mul_f64 v[1:2], v[80:81], v[66:67]
	v_add_f64 v[212:213], v[142:143], v[176:177]
	v_mul_f64 v[156:157], v[247:248], s[42:43]
	s_delay_alu instid0(VALU_DEP_4) | instskip(NEXT) | instid1(VALU_DEP_4)
	v_add_f64 v[204:205], v[144:145], v[178:179]
	v_fma_f64 v[184:185], v[82:83], v[64:65], v[1:2]
	v_mul_f64 v[1:2], v[82:83], v[66:67]
	v_add_f64 v[222:223], v[144:145], -v[178:179]
	s_delay_alu instid0(VALU_DEP_2)
	v_fma_f64 v[186:187], v[80:81], v[64:65], -v[1:2]
	s_waitcnt vmcnt(0)
	v_mul_f64 v[1:2], v[104:105], v[78:79]
	s_clause 0x1
	global_load_b128 v[80:83], v0, s[2:3] offset:64
	global_load_b128 v[52:55], v0, s[2:3] offset:80
	v_mul_f64 v[152:153], v[222:223], s[38:39]
	v_fma_f64 v[180:181], v[106:107], v[76:77], v[1:2]
	v_mul_f64 v[1:2], v[106:107], v[78:79]
	s_delay_alu instid0(VALU_DEP_2) | instskip(NEXT) | instid1(VALU_DEP_2)
	v_add_f64 v[251:252], v[184:185], -v[180:181]
	v_fma_f64 v[182:183], v[104:105], v[76:77], -v[1:2]
	s_clause 0x1
	global_load_b128 v[104:107], v0, s[2:3] offset:176
	global_load_b128 v[128:131], v0, s[2:3] offset:160
	v_add_f64 v[216:217], v[184:185], v[180:181]
	v_add_f64 v[208:209], v[186:187], v[182:183]
	v_add_f64 v[228:229], v[186:187], -v[182:183]
	s_delay_alu instid0(VALU_DEP_1) | instskip(SKIP_3) | instid1(VALU_DEP_1)
	v_mul_f64 v[158:159], v[228:229], s[50:51]
	v_mul_f64 v[18:19], v[228:229], s[46:47]
	s_waitcnt vmcnt(3)
	v_mul_f64 v[1:2], v[100:101], v[82:83]
	v_fma_f64 v[188:189], v[102:103], v[80:81], v[1:2]
	v_mul_f64 v[1:2], v[102:103], v[82:83]
	v_dual_mov_b32 v103, v8 :: v_dual_mov_b32 v102, v7
	s_delay_alu instid0(VALU_DEP_1) | instskip(SKIP_1) | instid1(VALU_DEP_4)
	v_add_f64 v[238:239], v[138:139], -v[102:103]
	v_add_f64 v[200:201], v[138:139], v[102:103]
	v_fma_f64 v[100:101], v[100:101], v[80:81], -v[1:2]
	s_waitcnt vmcnt(1)
	v_mul_f64 v[1:2], v[124:125], v[106:107]
	s_delay_alu instid0(VALU_DEP_1) | instskip(SKIP_1) | instid1(VALU_DEP_2)
	v_fma_f64 v[6:7], v[126:127], v[104:105], v[1:2]
	v_mul_f64 v[1:2], v[126:127], v[106:107]
	v_add_f64 v[206:207], v[188:189], -v[6:7]
	s_delay_alu instid0(VALU_DEP_2) | instskip(SKIP_2) | instid1(VALU_DEP_4)
	v_fma_f64 v[8:9], v[124:125], v[104:105], -v[1:2]
	v_mul_f64 v[1:2], v[116:117], v[54:55]
	v_add_f64 v[230:231], v[188:189], v[6:7]
	v_mul_f64 v[146:147], v[206:207], s[40:41]
	s_delay_alu instid0(VALU_DEP_4) | instskip(NEXT) | instid1(VALU_DEP_4)
	v_add_f64 v[224:225], v[100:101], v[8:9]
	v_fma_f64 v[12:13], v[118:119], v[52:53], v[1:2]
	v_mul_f64 v[1:2], v[118:119], v[54:55]
	v_add_f64 v[210:211], v[100:101], -v[8:9]
	s_delay_alu instid0(VALU_DEP_2)
	v_fma_f64 v[14:15], v[116:117], v[52:53], -v[1:2]
	s_clause 0x3
	global_load_b128 v[108:111], v0, s[2:3] offset:96
	global_load_b128 v[116:119], v0, s[2:3] offset:112
	global_load_b128 v[124:127], v0, s[2:3] offset:144
	global_load_b128 v[168:171], v0, s[2:3] offset:128
	s_waitcnt vmcnt(4)
	v_mul_f64 v[1:2], v[120:121], v[130:131]
	s_clause 0x1
	scratch_store_b64 off, v[8:9], off offset:304
	scratch_store_b64 off, v[4:5], off offset:344
	v_fma_f64 v[4:5], v[200:201], s[10:11], -v[4:5]
	scratch_store_b64 off, v[6:7], off offset:296 ; 8-byte Folded Spill
	v_mul_f64 v[24:25], v[210:211], s[54:55]
	scratch_store_b64 off, v[14:15], off offset:328 ; 8-byte Folded Spill
	v_fma_f64 v[10:11], v[122:123], v[128:129], v[1:2]
	v_mul_f64 v[1:2], v[122:123], v[130:131]
	s_delay_alu instid0(VALU_DEP_2) | instskip(NEXT) | instid1(VALU_DEP_2)
	v_add_f64 v[218:219], v[12:13], -v[10:11]
	v_fma_f64 v[120:121], v[120:121], v[128:129], -v[1:2]
	v_add_f64 v[245:246], v[12:13], v[10:11]
	s_delay_alu instid0(VALU_DEP_3) | instskip(NEXT) | instid1(VALU_DEP_3)
	v_mul_f64 v[148:149], v[218:219], s[46:47]
	v_add_f64 v[241:242], v[14:15], v[120:121]
	v_add_f64 v[226:227], v[14:15], -v[120:121]
	s_delay_alu instid0(VALU_DEP_1) | instskip(SKIP_3) | instid1(VALU_DEP_1)
	v_mul_f64 v[160:161], v[226:227], s[46:47]
	v_mul_f64 v[28:29], v[226:227], s[18:19]
	s_waitcnt vmcnt(3)
	v_mul_f64 v[1:2], v[112:113], v[110:111]
	v_fma_f64 v[122:123], v[114:115], v[108:109], v[1:2]
	v_mul_f64 v[1:2], v[114:115], v[110:111]
	s_delay_alu instid0(VALU_DEP_1) | instskip(SKIP_3) | instid1(VALU_DEP_2)
	v_fma_f64 v[112:113], v[112:113], v[108:109], -v[1:2]
	s_waitcnt vmcnt(1)
	v_mul_f64 v[0:1], v[96:97], v[126:127]
	v_mul_f64 v[2:3], v[238:239], s[12:13]
	v_fma_f64 v[114:115], v[98:99], v[124:125], v[0:1]
	v_mul_f64 v[0:1], v[98:99], v[126:127]
	scratch_store_b64 off, v[2:3], off offset:336 ; 8-byte Folded Spill
	v_fma_f64 v[2:3], v[196:197], s[10:11], v[2:3]
	v_add_f64 v[234:235], v[122:123], -v[114:115]
	v_fma_f64 v[96:97], v[96:97], v[124:125], -v[0:1]
	v_mul_f64 v[0:1], v[92:93], v[118:119]
	v_add_f64 v[253:254], v[122:123], v[114:115]
	s_delay_alu instid0(VALU_DEP_4) | instskip(NEXT) | instid1(VALU_DEP_4)
	v_mul_f64 v[150:151], v[234:235], s[48:49]
	v_add_f64 v[249:250], v[112:113], v[96:97]
	s_delay_alu instid0(VALU_DEP_4) | instskip(SKIP_3) | instid1(VALU_DEP_3)
	v_fma_f64 v[98:99], v[94:95], v[116:117], v[0:1]
	v_mul_f64 v[0:1], v[94:95], v[118:119]
	v_mul_f64 v[94:95], v[34:35], s[18:19]
	v_add_f64 v[243:244], v[112:113], -v[96:97]
	v_fma_f64 v[190:191], v[92:93], v[116:117], -v[0:1]
	s_waitcnt vmcnt(0)
	v_mul_f64 v[0:1], v[88:89], v[170:171]
	v_add_f64 v[92:93], v[30:31], -v[232:233]
	s_delay_alu instid0(VALU_DEP_4) | instskip(NEXT) | instid1(VALU_DEP_3)
	v_mul_f64 v[162:163], v[243:244], s[48:49]
	v_fma_f64 v[192:193], v[90:91], v[168:169], v[0:1]
	v_mul_f64 v[0:1], v[90:91], v[170:171]
	v_add_f64 v[90:91], v[20:21], v[46:47]
	v_mul_f64 v[36:37], v[92:93], s[12:13]
	v_mul_f64 v[40:41], v[92:93], s[28:29]
	v_add_f64 v[236:237], v[98:99], -v[192:193]
	v_fma_f64 v[194:195], v[88:89], v[168:169], -v[0:1]
	v_mul_f64 v[88:89], v[92:93], s[18:19]
	v_add_f64 v[214:215], v[98:99], v[192:193]
	s_delay_alu instid0(VALU_DEP_4) | instskip(NEXT) | instid1(VALU_DEP_4)
	v_mul_f64 v[154:155], v[236:237], s[52:53]
	v_add_f64 v[202:203], v[190:191], v[194:195]
	s_delay_alu instid0(VALU_DEP_4) | instskip(SKIP_1) | instid1(VALU_DEP_2)
	v_fma_f64 v[0:1], v[90:91], s[14:15], v[88:89]
	v_add_f64 v[198:199], v[190:191], -v[194:195]
	v_add_f64 v[0:1], v[84:85], v[0:1]
	s_delay_alu instid0(VALU_DEP_2) | instskip(NEXT) | instid1(VALU_DEP_2)
	v_mul_f64 v[16:17], v[198:199], s[52:53]
	v_add_f64 v[0:1], v[2:3], v[0:1]
	v_fma_f64 v[2:3], v[32:33], s[14:15], -v[94:95]
	s_delay_alu instid0(VALU_DEP_1) | instskip(NEXT) | instid1(VALU_DEP_1)
	v_add_f64 v[2:3], v[86:87], v[2:3]
	v_add_f64 v[2:3], v[4:5], v[2:3]
	v_mul_f64 v[4:5], v[247:248], s[28:29]
	scratch_store_b64 off, v[4:5], off offset:352 ; 8-byte Folded Spill
	v_fma_f64 v[4:5], v[204:205], s[16:17], v[4:5]
	s_delay_alu instid0(VALU_DEP_1) | instskip(SKIP_3) | instid1(VALU_DEP_1)
	v_add_f64 v[0:1], v[4:5], v[0:1]
	v_mul_f64 v[4:5], v[222:223], s[28:29]
	scratch_store_b64 off, v[4:5], off offset:368 ; 8-byte Folded Spill
	v_fma_f64 v[4:5], v[212:213], s[16:17], -v[4:5]
	v_add_f64 v[2:3], v[4:5], v[2:3]
	v_mul_f64 v[4:5], v[251:252], s[24:25]
	scratch_store_b64 off, v[4:5], off offset:360 ; 8-byte Folded Spill
	v_fma_f64 v[4:5], v[208:209], s[20:21], v[4:5]
	s_delay_alu instid0(VALU_DEP_1) | instskip(SKIP_3) | instid1(VALU_DEP_1)
	v_add_f64 v[0:1], v[4:5], v[0:1]
	v_mul_f64 v[4:5], v[228:229], s[24:25]
	scratch_store_b64 off, v[4:5], off offset:376 ; 8-byte Folded Spill
	v_fma_f64 v[4:5], v[216:217], s[20:21], -v[4:5]
	;; [unrolled: 9-line block ×3, first 2 shown]
	v_add_f64 v[2:3], v[4:5], v[2:3]
	v_mul_f64 v[4:5], v[218:219], s[38:39]
	scratch_store_b64 off, v[4:5], off offset:400 ; 8-byte Folded Spill
	v_fma_f64 v[4:5], v[241:242], s[26:27], v[4:5]
	s_clause 0x1
	scratch_store_b64 off, v[10:11], off offset:312
	scratch_store_b64 off, v[12:13], off offset:320
	v_mul_f64 v[10:11], v[222:223], s[42:43]
	v_add_f64 v[0:1], v[4:5], v[0:1]
	v_mul_f64 v[4:5], v[226:227], s[38:39]
	scratch_store_b64 off, v[4:5], off offset:408 ; 8-byte Folded Spill
	v_fma_f64 v[4:5], v[245:246], s[26:27], -v[4:5]
	s_delay_alu instid0(VALU_DEP_1) | instskip(SKIP_3) | instid1(VALU_DEP_1)
	v_add_f64 v[2:3], v[4:5], v[2:3]
	v_mul_f64 v[4:5], v[234:235], s[44:45]
	scratch_store_b64 off, v[4:5], off offset:416 ; 8-byte Folded Spill
	v_fma_f64 v[4:5], v[249:250], s[30:31], v[4:5]
	v_add_f64 v[0:1], v[4:5], v[0:1]
	v_mul_f64 v[4:5], v[243:244], s[44:45]
	scratch_store_b64 off, v[4:5], off offset:424 ; 8-byte Folded Spill
	v_fma_f64 v[4:5], v[253:254], s[30:31], -v[4:5]
	s_delay_alu instid0(VALU_DEP_1) | instskip(SKIP_3) | instid1(VALU_DEP_1)
	v_add_f64 v[2:3], v[4:5], v[2:3]
	v_mul_f64 v[4:5], v[236:237], s[50:51]
	scratch_store_b64 off, v[4:5], off offset:432 ; 8-byte Folded Spill
	v_fma_f64 v[4:5], v[202:203], s[34:35], v[4:5]
	v_add_f64 v[48:49], v[4:5], v[0:1]
	v_mul_f64 v[0:1], v[198:199], s[50:51]
	v_mul_f64 v[4:5], v[220:221], s[24:25]
	s_clause 0x1
	scratch_store_b64 off, v[0:1], off offset:440
	scratch_store_b64 off, v[4:5], off offset:488
	v_fma_f64 v[0:1], v[214:215], s[34:35], -v[0:1]
	v_fma_f64 v[4:5], v[200:201], s[20:21], -v[4:5]
	s_delay_alu instid0(VALU_DEP_2) | instskip(SKIP_2) | instid1(VALU_DEP_2)
	v_add_f64 v[50:51], v[0:1], v[2:3]
	v_fma_f64 v[0:1], v[90:91], s[10:11], v[36:37]
	v_mul_f64 v[2:3], v[238:239], s[24:25]
	v_add_f64 v[0:1], v[84:85], v[0:1]
	scratch_store_b64 off, v[2:3], off offset:456 ; 8-byte Folded Spill
	v_fma_f64 v[2:3], v[196:197], s[20:21], v[2:3]
	s_delay_alu instid0(VALU_DEP_1) | instskip(SKIP_1) | instid1(VALU_DEP_1)
	v_add_f64 v[0:1], v[2:3], v[0:1]
	v_fma_f64 v[2:3], v[32:33], s[10:11], -v[38:39]
	v_add_f64 v[2:3], v[86:87], v[2:3]
	s_delay_alu instid0(VALU_DEP_1) | instskip(SKIP_3) | instid1(VALU_DEP_1)
	v_add_f64 v[2:3], v[4:5], v[2:3]
	v_mul_f64 v[4:5], v[247:248], s[38:39]
	scratch_store_b64 off, v[4:5], off offset:464 ; 8-byte Folded Spill
	v_fma_f64 v[4:5], v[204:205], s[26:27], v[4:5]
	v_add_f64 v[0:1], v[4:5], v[0:1]
	v_fma_f64 v[4:5], v[212:213], s[26:27], -v[152:153]
	s_delay_alu instid0(VALU_DEP_1) | instskip(SKIP_3) | instid1(VALU_DEP_1)
	v_add_f64 v[2:3], v[4:5], v[2:3]
	v_mul_f64 v[4:5], v[251:252], s[50:51]
	scratch_store_b64 off, v[4:5], off offset:480 ; 8-byte Folded Spill
	v_fma_f64 v[4:5], v[208:209], s[34:35], v[4:5]
	v_add_f64 v[0:1], v[4:5], v[0:1]
	v_fma_f64 v[4:5], v[216:217], s[34:35], -v[158:159]
	s_delay_alu instid0(VALU_DEP_1) | instskip(SKIP_1) | instid1(VALU_DEP_1)
	v_add_f64 v[4:5], v[4:5], v[2:3]
	v_fma_f64 v[2:3], v[224:225], s[30:31], v[146:147]
	v_add_f64 v[0:1], v[2:3], v[0:1]
	v_mul_f64 v[2:3], v[210:211], s[40:41]
	s_delay_alu instid0(VALU_DEP_1) | instskip(NEXT) | instid1(VALU_DEP_1)
	v_fma_f64 v[6:7], v[230:231], s[30:31], -v[2:3]
	v_add_f64 v[4:5], v[6:7], v[4:5]
	v_fma_f64 v[6:7], v[241:242], s[22:23], v[148:149]
	s_delay_alu instid0(VALU_DEP_1) | instskip(SKIP_1) | instid1(VALU_DEP_1)
	v_add_f64 v[0:1], v[6:7], v[0:1]
	v_fma_f64 v[6:7], v[245:246], s[22:23], -v[160:161]
	v_add_f64 v[4:5], v[6:7], v[4:5]
	v_fma_f64 v[6:7], v[249:250], s[16:17], v[150:151]
	s_delay_alu instid0(VALU_DEP_1) | instskip(SKIP_1) | instid1(VALU_DEP_1)
	v_add_f64 v[0:1], v[6:7], v[0:1]
	v_fma_f64 v[6:7], v[253:254], s[16:17], -v[162:163]
	v_add_f64 v[4:5], v[6:7], v[4:5]
	v_fma_f64 v[6:7], v[202:203], s[14:15], v[154:155]
	s_delay_alu instid0(VALU_DEP_1) | instskip(SKIP_2) | instid1(VALU_DEP_2)
	v_add_f64 v[164:165], v[6:7], v[0:1]
	v_fma_f64 v[0:1], v[214:215], s[14:15], -v[16:17]
	v_mul_f64 v[6:7], v[220:221], s[38:39]
	v_add_f64 v[166:167], v[0:1], v[4:5]
	v_fma_f64 v[0:1], v[90:91], s[16:17], v[40:41]
	v_mul_f64 v[4:5], v[238:239], s[38:39]
	s_delay_alu instid0(VALU_DEP_4) | instskip(NEXT) | instid1(VALU_DEP_3)
	v_fma_f64 v[8:9], v[200:201], s[26:27], -v[6:7]
	v_add_f64 v[0:1], v[84:85], v[0:1]
	scratch_store_b64 off, v[4:5], off offset:472 ; 8-byte Folded Spill
	v_fma_f64 v[4:5], v[196:197], s[26:27], v[4:5]
	s_waitcnt_vscnt null, 0x0
	s_barrier
	buffer_gl0_inv
	v_add_f64 v[0:1], v[4:5], v[0:1]
	v_fma_f64 v[4:5], v[32:33], s[16:17], -v[42:43]
	s_delay_alu instid0(VALU_DEP_1) | instskip(NEXT) | instid1(VALU_DEP_1)
	v_add_f64 v[4:5], v[86:87], v[4:5]
	v_add_f64 v[4:5], v[8:9], v[4:5]
	v_fma_f64 v[8:9], v[204:205], s[34:35], v[156:157]
	s_delay_alu instid0(VALU_DEP_1) | instskip(SKIP_1) | instid1(VALU_DEP_1)
	v_add_f64 v[8:9], v[8:9], v[0:1]
	v_fma_f64 v[0:1], v[212:213], s[34:35], -v[10:11]
	v_add_f64 v[4:5], v[0:1], v[4:5]
	v_mul_f64 v[0:1], v[251:252], s[46:47]
	s_delay_alu instid0(VALU_DEP_1) | instskip(NEXT) | instid1(VALU_DEP_1)
	v_fma_f64 v[12:13], v[208:209], s[22:23], v[0:1]
	v_add_f64 v[8:9], v[12:13], v[8:9]
	v_fma_f64 v[12:13], v[216:217], s[22:23], -v[18:19]
	s_delay_alu instid0(VALU_DEP_1) | instskip(SKIP_1) | instid1(VALU_DEP_1)
	v_add_f64 v[4:5], v[12:13], v[4:5]
	v_mul_f64 v[12:13], v[206:207], s[54:55]
	v_fma_f64 v[14:15], v[224:225], s[10:11], v[12:13]
	s_delay_alu instid0(VALU_DEP_1) | instskip(SKIP_1) | instid1(VALU_DEP_1)
	v_add_f64 v[8:9], v[14:15], v[8:9]
	v_fma_f64 v[14:15], v[230:231], s[10:11], -v[24:25]
	v_add_f64 v[4:5], v[14:15], v[4:5]
	v_mul_f64 v[14:15], v[218:219], s[18:19]
	s_delay_alu instid0(VALU_DEP_1) | instskip(NEXT) | instid1(VALU_DEP_1)
	v_fma_f64 v[22:23], v[241:242], s[14:15], v[14:15]
	v_add_f64 v[22:23], v[22:23], v[8:9]
	v_fma_f64 v[8:9], v[245:246], s[14:15], -v[28:29]
	s_delay_alu instid0(VALU_DEP_1) | instskip(SKIP_1) | instid1(VALU_DEP_1)
	v_add_f64 v[4:5], v[8:9], v[4:5]
	v_mul_f64 v[8:9], v[234:235], s[24:25]
	v_fma_f64 v[26:27], v[249:250], s[20:21], v[8:9]
	s_delay_alu instid0(VALU_DEP_1) | instskip(SKIP_1) | instid1(VALU_DEP_1)
	v_add_f64 v[22:23], v[26:27], v[22:23]
	v_mul_f64 v[26:27], v[243:244], s[24:25]
	v_fma_f64 v[172:173], v[253:254], s[20:21], -v[26:27]
	s_delay_alu instid0(VALU_DEP_1) | instskip(SKIP_1) | instid1(VALU_DEP_1)
	v_add_f64 v[174:175], v[172:173], v[4:5]
	v_mul_f64 v[4:5], v[236:237], s[44:45]
	v_fma_f64 v[172:173], v[202:203], s[30:31], v[4:5]
	s_delay_alu instid0(VALU_DEP_1) | instskip(SKIP_1) | instid1(VALU_DEP_1)
	v_add_f64 v[172:173], v[172:173], v[22:23]
	v_mul_f64 v[22:23], v[198:199], s[44:45]
	v_fma_f64 v[44:45], v[214:215], s[30:31], -v[22:23]
	s_delay_alu instid0(VALU_DEP_1)
	v_add_f64 v[174:175], v[44:45], v[174:175]
	s_and_saveexec_b32 s1, s0
	s_cbranch_execz .LBB0_11
; %bb.10:
	v_mul_f64 v[44:45], v[32:33], s[34:35]
	s_clause 0x3
	scratch_store_b64 off, v[46:47], off offset:496
	scratch_store_b64 off, v[176:177], off offset:504
	;; [unrolled: 1-line block ×4, first 2 shown]
	v_mul_f64 v[176:177], v[32:33], s[30:31]
	v_mul_f64 v[180:181], v[32:33], s[26:27]
	s_clause 0x3
	scratch_store_b64 off, v[182:183], off offset:528
	scratch_store_b64 off, v[120:121], off offset:536
	;; [unrolled: 1-line block ×4, first 2 shown]
	v_mul_f64 v[184:185], v[32:33], s[22:23]
	v_mul_f64 v[186:187], v[32:33], s[20:21]
	s_mov_b32 s57, 0x3fe9895b
	s_mov_b32 s56, s38
	;; [unrolled: 1-line block ×4, first 2 shown]
	s_clause 0x3
	scratch_store_b64 off, v[188:189], off offset:568
	scratch_store_b64 off, v[136:137], off offset:576
	;; [unrolled: 1-line block ×4, first 2 shown]
	v_mul_f64 v[122:123], v[92:93], s[38:39]
	v_mul_f64 v[136:137], v[92:93], s[36:37]
	s_clause 0x3
	scratch_store_b64 off, v[138:139], off offset:616
	scratch_store_b64 off, v[140:141], off offset:632
	;; [unrolled: 1-line block ×4, first 2 shown]
	v_dual_mov_b32 v100, v144 :: v_dual_mov_b32 v101, v145
	v_add_f64 v[30:31], v[86:87], v[30:31]
	v_add_f64 v[20:21], v[84:85], v[20:21]
	v_fma_f64 v[46:47], v[34:35], s[42:43], v[44:45]
	v_fma_f64 v[44:45], v[34:35], s[50:51], v[44:45]
	;; [unrolled: 1-line block ×10, first 2 shown]
	v_mul_f64 v[186:187], v[32:33], s[16:17]
	v_fma_f64 v[140:141], v[90:91], s[26:27], v[122:123]
	v_fma_f64 v[122:123], v[90:91], s[26:27], -v[122:123]
	v_fma_f64 v[142:143], v[90:91], s[22:23], v[136:137]
	v_fma_f64 v[136:137], v[90:91], s[22:23], -v[136:137]
	scratch_store_b64 off, v[30:31], off offset:656 ; 8-byte Folded Spill
	v_add_f64 v[186:187], v[42:43], v[186:187]
	v_mul_f64 v[42:43], v[90:91], s[16:17]
	s_delay_alu instid0(VALU_DEP_1) | instskip(SKIP_2) | instid1(VALU_DEP_2)
	v_add_f64 v[40:41], v[42:43], -v[40:41]
	v_mul_f64 v[42:43], v[32:33], s[10:11]
	v_mul_f64 v[32:33], v[32:33], s[14:15]
	v_add_f64 v[38:39], v[38:39], v[42:43]
	v_mul_f64 v[42:43], v[90:91], s[10:11]
	s_delay_alu instid0(VALU_DEP_3) | instskip(SKIP_1) | instid1(VALU_DEP_4)
	v_add_f64 v[32:33], v[94:95], v[32:33]
	v_mul_f64 v[94:95], v[92:93], s[44:45]
	v_add_f64 v[38:39], v[86:87], v[38:39]
	s_delay_alu instid0(VALU_DEP_4)
	v_add_f64 v[36:37], v[42:43], -v[36:37]
	v_mul_f64 v[42:43], v[92:93], s[50:51]
	v_mul_f64 v[92:93], v[92:93], s[24:25]
	v_fma_f64 v[138:139], v[90:91], s[30:31], v[94:95]
	v_fma_f64 v[94:95], v[90:91], s[30:31], -v[94:95]
	v_add_f64 v[32:33], v[86:87], v[32:33]
	v_add_f64 v[36:37], v[84:85], v[36:37]
	v_fma_f64 v[112:113], v[90:91], s[34:35], v[42:43]
	v_fma_f64 v[42:43], v[90:91], s[34:35], -v[42:43]
	v_fma_f64 v[144:145], v[90:91], s[20:21], v[92:93]
	v_fma_f64 v[92:93], v[90:91], s[20:21], -v[92:93]
	v_mul_f64 v[90:91], v[90:91], s[14:15]
	scratch_store_b64 off, v[32:33], off offset:680 ; 8-byte Folded Spill
	v_add_f64 v[138:139], v[84:85], v[138:139]
	v_add_f64 v[30:31], v[84:85], v[42:43]
	;; [unrolled: 1-line block ×4, first 2 shown]
	v_add_f64 v[88:89], v[90:91], -v[88:89]
	v_add_f64 v[90:91], v[86:87], v[46:47]
	v_add_f64 v[46:47], v[84:85], v[112:113]
	;; [unrolled: 1-line block ×3, first 2 shown]
	v_mul_f64 v[178:179], v[218:219], s[48:49]
	v_add_f64 v[32:33], v[84:85], v[88:89]
	scratch_store_b64 off, v[20:21], off offset:664 ; 8-byte Folded Spill
	v_add_f64 v[20:21], v[86:87], v[44:45]
	v_add_f64 v[44:45], v[84:85], v[94:95]
	;; [unrolled: 1-line block ×3, first 2 shown]
	v_mul_f64 v[88:89], v[238:239], s[52:53]
	v_mul_f64 v[182:183], v[234:235], s[36:37]
	scratch_store_b64 off, v[32:33], off offset:672 ; 8-byte Folded Spill
	v_mul_f64 v[32:33], v[200:201], s[14:15]
	scratch_store_b64 off, v[94:95], off offset:728 ; 8-byte Folded Spill
	v_add_f64 v[94:95], v[84:85], v[140:141]
	v_mul_f64 v[140:141], v[230:231], s[26:27]
	scratch_store_b64 off, v[94:95], off offset:720 ; 8-byte Folded Spill
	v_add_f64 v[94:95], v[86:87], v[180:181]
	v_mul_f64 v[180:181], v[253:254], s[22:23]
	scratch_store_b64 off, v[94:95], off offset:744 ; 8-byte Folded Spill
	v_add_f64 v[94:95], v[84:85], v[122:123]
	v_add_f64 v[122:123], v[86:87], v[34:35]
	v_add_f64 v[34:35], v[84:85], v[40:41]
	v_fma_f64 v[40:41], v[220:221], s[18:19], v[32:33]
	v_fma_f64 v[32:33], v[220:221], s[52:53], v[32:33]
	scratch_store_b64 off, v[94:95], off offset:736 ; 8-byte Folded Spill
	v_add_f64 v[94:95], v[86:87], v[120:121]
	v_add_f64 v[120:121], v[84:85], v[92:93]
	v_mul_f64 v[92:93], v[247:248], s[44:45]
	v_add_f64 v[40:41], v[40:41], v[90:91]
	v_mul_f64 v[90:91], v[212:213], s[30:31]
	v_add_f64 v[20:21], v[32:33], v[20:21]
	v_fma_f64 v[32:33], v[196:197], s[14:15], -v[88:89]
	scratch_store_b64 off, v[94:95], off offset:712 ; 8-byte Folded Spill
	v_add_f64 v[94:95], v[84:85], v[142:143]
	v_mul_f64 v[142:143], v[206:207], s[38:39]
	v_add_f64 v[30:31], v[32:33], v[30:31]
	v_fma_f64 v[32:33], v[222:223], s[44:45], v[90:91]
	scratch_store_b64 off, v[94:95], off offset:704 ; 8-byte Folded Spill
	v_add_f64 v[94:95], v[86:87], v[184:185]
	v_mul_f64 v[184:185], v[214:215], s[20:21]
	v_add_f64 v[20:21], v[32:33], v[20:21]
	v_fma_f64 v[32:33], v[204:205], s[30:31], -v[92:93]
	scratch_store_b64 off, v[94:95], off offset:760 ; 8-byte Folded Spill
	v_add_f64 v[94:95], v[84:85], v[136:137]
	v_mul_f64 v[136:137], v[251:252], s[54:55]
	v_add_f64 v[30:31], v[32:33], v[30:31]
	scratch_store_b64 off, v[94:95], off offset:752 ; 8-byte Folded Spill
	v_add_f64 v[94:95], v[86:87], v[188:189]
	scratch_store_b64 off, v[94:95], off offset:696 ; 8-byte Folded Spill
	v_add_f64 v[94:95], v[84:85], v[144:145]
	v_fma_f64 v[84:85], v[196:197], s[14:15], v[88:89]
	v_mul_f64 v[144:145], v[245:246], s[16:17]
	scratch_store_b64 off, v[94:95], off offset:688 ; 8-byte Folded Spill
	v_add_f64 v[46:47], v[84:85], v[46:47]
	v_fma_f64 v[84:85], v[222:223], s[40:41], v[90:91]
	v_mul_f64 v[94:95], v[216:217], s[10:11]
	s_delay_alu instid0(VALU_DEP_2) | instskip(SKIP_1) | instid1(VALU_DEP_3)
	v_add_f64 v[40:41], v[84:85], v[40:41]
	v_fma_f64 v[84:85], v[204:205], s[30:31], v[92:93]
	v_fma_f64 v[32:33], v[228:229], s[54:55], v[94:95]
	s_delay_alu instid0(VALU_DEP_2) | instskip(SKIP_1) | instid1(VALU_DEP_3)
	v_add_f64 v[46:47], v[84:85], v[46:47]
	v_fma_f64 v[84:85], v[228:229], s[12:13], v[94:95]
	v_add_f64 v[20:21], v[32:33], v[20:21]
	v_fma_f64 v[32:33], v[208:209], s[10:11], -v[136:137]
	s_delay_alu instid0(VALU_DEP_3) | instskip(SKIP_2) | instid1(VALU_DEP_4)
	v_add_f64 v[40:41], v[84:85], v[40:41]
	v_fma_f64 v[84:85], v[208:209], s[10:11], v[136:137]
	v_mul_f64 v[136:137], v[216:217], s[26:27]
	v_add_f64 v[30:31], v[32:33], v[30:31]
	v_fma_f64 v[32:33], v[210:211], s[38:39], v[140:141]
	s_delay_alu instid0(VALU_DEP_4) | instskip(SKIP_2) | instid1(VALU_DEP_4)
	v_add_f64 v[46:47], v[84:85], v[46:47]
	v_fma_f64 v[84:85], v[210:211], s[56:57], v[140:141]
	v_mul_f64 v[140:141], v[230:231], s[14:15]
	v_add_f64 v[20:21], v[32:33], v[20:21]
	v_fma_f64 v[32:33], v[224:225], s[26:27], -v[142:143]
	s_delay_alu instid0(VALU_DEP_4) | instskip(SKIP_2) | instid1(VALU_DEP_4)
	v_add_f64 v[40:41], v[84:85], v[40:41]
	v_fma_f64 v[84:85], v[224:225], s[26:27], v[142:143]
	v_mul_f64 v[142:143], v[206:207], s[18:19]
	v_add_f64 v[30:31], v[32:33], v[30:31]
	v_fma_f64 v[32:33], v[226:227], s[48:49], v[144:145]
	s_delay_alu instid0(VALU_DEP_4) | instskip(SKIP_2) | instid1(VALU_DEP_4)
	v_add_f64 v[46:47], v[84:85], v[46:47]
	v_fma_f64 v[84:85], v[226:227], s[28:29], v[144:145]
	v_mul_f64 v[144:145], v[245:246], s[34:35]
	v_add_f64 v[20:21], v[32:33], v[20:21]
	v_fma_f64 v[32:33], v[241:242], s[16:17], -v[178:179]
	s_delay_alu instid0(VALU_DEP_4) | instskip(SKIP_2) | instid1(VALU_DEP_4)
	;; [unrolled: 12-line block ×3, first 2 shown]
	v_add_f64 v[40:41], v[84:85], v[40:41]
	v_fma_f64 v[84:85], v[249:250], s[22:23], v[182:183]
	v_mul_f64 v[182:183], v[234:235], s[54:55]
	v_add_f64 v[30:31], v[32:33], v[30:31]
	v_fma_f64 v[32:33], v[198:199], s[58:59], v[184:185]
	s_delay_alu instid0(VALU_DEP_4) | instskip(SKIP_2) | instid1(VALU_DEP_4)
	v_add_f64 v[46:47], v[84:85], v[46:47]
	v_fma_f64 v[84:85], v[198:199], s[24:25], v[184:185]
	v_mul_f64 v[184:185], v[214:215], s[22:23]
	v_add_f64 v[90:91], v[32:33], v[20:21]
	v_mul_f64 v[20:21], v[200:201], s[16:17]
	v_mul_f64 v[32:33], v[238:239], s[48:49]
	v_add_f64 v[86:87], v[84:85], v[40:41]
	v_mul_f64 v[40:41], v[236:237], s[58:59]
	s_delay_alu instid0(VALU_DEP_1) | instskip(SKIP_1) | instid1(VALU_DEP_2)
	v_fma_f64 v[84:85], v[202:203], s[20:21], v[40:41]
	v_fma_f64 v[40:41], v[202:203], s[20:21], -v[40:41]
	v_add_f64 v[84:85], v[84:85], v[46:47]
	s_delay_alu instid0(VALU_DEP_2)
	v_add_f64 v[88:89], v[40:41], v[30:31]
	v_fma_f64 v[30:31], v[220:221], s[28:29], v[20:21]
	v_mul_f64 v[46:47], v[212:213], s[20:21]
	v_fma_f64 v[40:41], v[196:197], s[16:17], v[32:33]
	v_fma_f64 v[20:21], v[220:221], s[48:49], v[20:21]
	v_fma_f64 v[32:33], v[196:197], s[16:17], -v[32:33]
	v_add_f64 v[30:31], v[30:31], v[112:113]
	v_fma_f64 v[92:93], v[222:223], s[58:59], v[46:47]
	v_mul_f64 v[112:113], v[247:248], s[24:25]
	v_add_f64 v[40:41], v[40:41], v[138:139]
	v_mul_f64 v[138:139], v[251:252], s[56:57]
	v_add_f64 v[20:21], v[20:21], v[42:43]
	v_add_f64 v[32:33], v[32:33], v[44:45]
	v_mul_f64 v[44:45], v[204:205], s[26:27]
	v_add_f64 v[30:31], v[92:93], v[30:31]
	v_fma_f64 v[92:93], v[204:205], s[20:21], v[112:113]
	s_delay_alu instid0(VALU_DEP_1) | instskip(SKIP_1) | instid1(VALU_DEP_1)
	v_add_f64 v[40:41], v[92:93], v[40:41]
	v_fma_f64 v[92:93], v[228:229], s[38:39], v[136:137]
	v_add_f64 v[30:31], v[92:93], v[30:31]
	v_fma_f64 v[92:93], v[208:209], s[26:27], v[138:139]
	s_delay_alu instid0(VALU_DEP_1) | instskip(SKIP_1) | instid1(VALU_DEP_1)
	v_add_f64 v[40:41], v[92:93], v[40:41]
	v_fma_f64 v[92:93], v[210:211], s[52:53], v[140:141]
	;; [unrolled: 5-line block ×5, first 2 shown]
	v_add_f64 v[94:95], v[92:93], v[30:31]
	v_mul_f64 v[30:31], v[236:237], s[36:37]
	s_delay_alu instid0(VALU_DEP_1) | instskip(SKIP_1) | instid1(VALU_DEP_2)
	v_fma_f64 v[92:93], v[202:203], s[22:23], v[30:31]
	v_fma_f64 v[30:31], v[202:203], s[22:23], -v[30:31]
	v_add_f64 v[92:93], v[92:93], v[40:41]
	v_fma_f64 v[40:41], v[222:223], s[24:25], v[46:47]
	scratch_load_b64 v[46:47], off, off offset:464 ; 8-byte Folded Reload
	v_add_f64 v[20:21], v[40:41], v[20:21]
	v_fma_f64 v[40:41], v[204:205], s[20:21], -v[112:113]
	v_mul_f64 v[112:113], v[208:209], s[34:35]
	s_delay_alu instid0(VALU_DEP_2)
	v_add_f64 v[32:33], v[40:41], v[32:33]
	v_fma_f64 v[40:41], v[228:229], s[56:57], v[136:137]
	scratch_load_b64 v[136:137], off, off offset:480 ; 8-byte Folded Reload
	v_add_f64 v[20:21], v[40:41], v[20:21]
	v_fma_f64 v[40:41], v[208:209], s[26:27], -v[138:139]
	v_mul_f64 v[138:139], v[245:246], s[22:23]
	s_delay_alu instid0(VALU_DEP_2) | instskip(SKIP_1) | instid1(VALU_DEP_3)
	v_add_f64 v[32:33], v[40:41], v[32:33]
	v_fma_f64 v[40:41], v[210:211], s[18:19], v[140:141]
	v_add_f64 v[138:139], v[160:161], v[138:139]
	v_mul_f64 v[140:141], v[236:237], s[54:55]
	v_mul_f64 v[160:161], v[234:235], s[18:19]
	s_delay_alu instid0(VALU_DEP_4) | instskip(SKIP_2) | instid1(VALU_DEP_2)
	v_add_f64 v[20:21], v[40:41], v[20:21]
	v_fma_f64 v[40:41], v[224:225], s[14:15], -v[142:143]
	v_mul_f64 v[142:143], v[212:213], s[10:11]
	v_add_f64 v[32:33], v[40:41], v[32:33]
	v_fma_f64 v[40:41], v[226:227], s[50:51], v[144:145]
	v_mul_f64 v[144:145], v[216:217], s[16:17]
	s_delay_alu instid0(VALU_DEP_2)
	v_add_f64 v[20:21], v[40:41], v[20:21]
	v_fma_f64 v[40:41], v[241:242], s[34:35], -v[178:179]
	scratch_load_b64 v[178:179], off, off offset:736 ; 8-byte Folded Reload
	v_add_f64 v[32:33], v[40:41], v[32:33]
	v_fma_f64 v[40:41], v[243:244], s[54:55], v[180:181]
	s_waitcnt vmcnt(2)
	v_add_f64 v[44:45], v[44:45], -v[46:47]
	v_mul_f64 v[46:47], v[216:217], s[34:35]
	s_delay_alu instid0(VALU_DEP_3) | instskip(SKIP_1) | instid1(VALU_DEP_3)
	v_add_f64 v[20:21], v[40:41], v[20:21]
	v_fma_f64 v[40:41], v[249:250], s[10:11], -v[182:183]
	v_add_f64 v[46:47], v[158:159], v[46:47]
	v_mul_f64 v[158:159], v[253:254], s[14:15]
	s_delay_alu instid0(VALU_DEP_3) | instskip(SKIP_4) | instid1(VALU_DEP_3)
	v_add_f64 v[32:33], v[40:41], v[32:33]
	v_fma_f64 v[40:41], v[198:199], s[36:37], v[184:185]
	s_waitcnt vmcnt(1)
	v_add_f64 v[112:113], v[112:113], -v[136:137]
	v_mul_f64 v[136:137], v[230:231], s[30:31]
	v_add_f64 v[42:43], v[40:41], v[20:21]
	v_add_f64 v[40:41], v[30:31], v[32:33]
	s_clause 0x1
	scratch_load_b64 v[30:31], off, off offset:488
	scratch_load_b64 v[32:33], off, off offset:456
	v_mul_f64 v[20:21], v[200:201], s[20:21]
	v_add_f64 v[2:3], v[2:3], v[136:137]
	v_mul_f64 v[136:137], v[224:225], s[30:31]
	s_delay_alu instid0(VALU_DEP_1) | instskip(SKIP_4) | instid1(VALU_DEP_2)
	v_add_f64 v[136:137], v[136:137], -v[146:147]
	v_mul_f64 v[146:147], v[247:248], s[54:55]
	s_waitcnt vmcnt(1)
	v_add_f64 v[20:21], v[30:31], v[20:21]
	v_mul_f64 v[30:31], v[196:197], s[20:21]
	v_add_f64 v[20:21], v[20:21], v[38:39]
	s_waitcnt vmcnt(0)
	s_delay_alu instid0(VALU_DEP_2) | instskip(SKIP_2) | instid1(VALU_DEP_3)
	v_add_f64 v[30:31], v[30:31], -v[32:33]
	v_mul_f64 v[32:33], v[212:213], s[26:27]
	v_mul_f64 v[38:39], v[249:250], s[16:17]
	v_add_f64 v[30:31], v[30:31], v[36:37]
	s_delay_alu instid0(VALU_DEP_3) | instskip(SKIP_1) | instid1(VALU_DEP_4)
	v_add_f64 v[32:33], v[152:153], v[32:33]
	v_mul_f64 v[36:37], v[241:242], s[22:23]
	v_add_f64 v[38:39], v[38:39], -v[150:151]
	v_mul_f64 v[150:151], v[230:231], s[34:35]
	v_mul_f64 v[152:153], v[206:207], s[50:51]
	v_add_f64 v[30:31], v[44:45], v[30:31]
	v_add_f64 v[20:21], v[32:33], v[20:21]
	v_mul_f64 v[32:33], v[253:254], s[16:17]
	v_add_f64 v[36:37], v[36:37], -v[148:149]
	v_mul_f64 v[44:45], v[245:246], s[30:31]
	v_mul_f64 v[148:149], v[251:252], s[28:29]
	v_add_f64 v[30:31], v[112:113], v[30:31]
	v_add_f64 v[20:21], v[46:47], v[20:21]
	;; [unrolled: 1-line block ×3, first 2 shown]
	v_mul_f64 v[46:47], v[218:219], s[44:45]
	v_mul_f64 v[112:113], v[253:254], s[26:27]
	;; [unrolled: 1-line block ×3, first 2 shown]
	v_add_f64 v[2:3], v[2:3], v[20:21]
	v_add_f64 v[20:21], v[136:137], v[30:31]
	v_mul_f64 v[30:31], v[214:215], s[14:15]
	s_delay_alu instid0(VALU_DEP_3) | instskip(NEXT) | instid1(VALU_DEP_3)
	v_add_f64 v[2:3], v[138:139], v[2:3]
	v_add_f64 v[20:21], v[36:37], v[20:21]
	s_delay_alu instid0(VALU_DEP_3)
	v_add_f64 v[16:17], v[16:17], v[30:31]
	v_mul_f64 v[30:31], v[202:203], s[14:15]
	v_mul_f64 v[36:37], v[230:231], s[16:17]
	v_add_f64 v[2:3], v[32:33], v[2:3]
	v_add_f64 v[20:21], v[38:39], v[20:21]
	v_mul_f64 v[32:33], v[216:217], s[14:15]
	v_add_f64 v[30:31], v[30:31], -v[154:155]
	v_mul_f64 v[38:39], v[206:207], s[28:29]
	v_mul_f64 v[154:155], v[245:246], s[20:21]
	v_add_f64 v[138:139], v[16:17], v[2:3]
	scratch_load_b64 v[16:17], off, off offset:472 ; 8-byte Folded Reload
	v_mul_f64 v[2:3], v[200:201], s[26:27]
	v_add_f64 v[136:137], v[30:31], v[20:21]
	v_mul_f64 v[20:21], v[216:217], s[22:23]
	v_mul_f64 v[30:31], v[247:248], s[46:47]
	s_delay_alu instid0(VALU_DEP_4) | instskip(SKIP_1) | instid1(VALU_DEP_4)
	v_add_f64 v[2:3], v[6:7], v[2:3]
	v_mul_f64 v[6:7], v[196:197], s[26:27]
	v_add_f64 v[18:19], v[18:19], v[20:21]
	v_mul_f64 v[20:21], v[208:209], s[22:23]
	s_delay_alu instid0(VALU_DEP_4) | instskip(SKIP_2) | instid1(VALU_DEP_4)
	v_add_f64 v[2:3], v[2:3], v[176:177]
	v_mul_f64 v[176:177], v[236:237], s[38:39]
	v_mul_f64 v[236:237], v[236:237], s[48:49]
	v_add_f64 v[0:1], v[20:21], -v[0:1]
	v_mul_f64 v[20:21], v[230:231], s[10:11]
	s_delay_alu instid0(VALU_DEP_1) | instskip(SKIP_1) | instid1(VALU_DEP_1)
	v_add_f64 v[20:21], v[24:25], v[20:21]
	v_mul_f64 v[24:25], v[224:225], s[10:11]
	v_add_f64 v[12:13], v[24:25], -v[12:13]
	v_mul_f64 v[24:25], v[245:246], s[14:15]
	s_delay_alu instid0(VALU_DEP_1) | instskip(SKIP_1) | instid1(VALU_DEP_1)
	v_add_f64 v[24:25], v[28:29], v[24:25]
	v_mul_f64 v[28:29], v[241:242], s[14:15]
	v_add_f64 v[14:15], v[28:29], -v[14:15]
	v_mul_f64 v[28:29], v[212:213], s[22:23]
	s_waitcnt vmcnt(0)
	v_add_f64 v[6:7], v[6:7], -v[16:17]
	v_mul_f64 v[16:17], v[212:213], s[34:35]
	s_delay_alu instid0(VALU_DEP_2) | instskip(NEXT) | instid1(VALU_DEP_2)
	v_add_f64 v[6:7], v[6:7], v[34:35]
	v_add_f64 v[10:11], v[10:11], v[16:17]
	v_mul_f64 v[16:17], v[204:205], s[34:35]
	v_mul_f64 v[34:35], v[251:252], s[52:53]
	s_delay_alu instid0(VALU_DEP_3) | instskip(NEXT) | instid1(VALU_DEP_3)
	v_add_f64 v[2:3], v[10:11], v[2:3]
	v_add_f64 v[16:17], v[16:17], -v[156:157]
	v_mul_f64 v[10:11], v[253:254], s[20:21]
	v_mul_f64 v[156:157], v[218:219], s[58:59]
	;; [unrolled: 1-line block ×3, first 2 shown]
	v_add_f64 v[2:3], v[18:19], v[2:3]
	v_add_f64 v[6:7], v[16:17], v[6:7]
	;; [unrolled: 1-line block ×3, first 2 shown]
	v_mul_f64 v[26:27], v[238:239], s[50:51]
	v_mul_f64 v[16:17], v[200:201], s[22:23]
	;; [unrolled: 1-line block ×3, first 2 shown]
	v_add_f64 v[2:3], v[20:21], v[2:3]
	v_add_f64 v[0:1], v[0:1], v[6:7]
	v_mul_f64 v[6:7], v[249:250], s[20:21]
	v_mul_f64 v[20:21], v[200:201], s[30:31]
	s_delay_alu instid0(VALU_DEP_4) | instskip(NEXT) | instid1(VALU_DEP_4)
	v_add_f64 v[2:3], v[24:25], v[2:3]
	v_add_f64 v[0:1], v[12:13], v[0:1]
	s_delay_alu instid0(VALU_DEP_4)
	v_add_f64 v[6:7], v[6:7], -v[8:9]
	v_mul_f64 v[12:13], v[202:203], s[30:31]
	v_mul_f64 v[8:9], v[214:215], s[30:31]
	;; [unrolled: 1-line block ×3, first 2 shown]
	v_add_f64 v[2:3], v[10:11], v[2:3]
	v_add_f64 v[0:1], v[14:15], v[0:1]
	scratch_load_b64 v[10:11], off, off offset:760 ; 8-byte Folded Reload
	v_add_f64 v[4:5], v[12:13], -v[4:5]
	s_clause 0x1
	scratch_load_b64 v[12:13], off, off offset:752
	scratch_load_b64 v[14:15], off, off offset:744
	v_add_f64 v[8:9], v[22:23], v[8:9]
	v_mul_f64 v[22:23], v[238:239], s[40:41]
	v_add_f64 v[0:1], v[6:7], v[0:1]
	v_fma_f64 v[6:7], v[196:197], s[34:35], -v[26:27]
	v_fma_f64 v[26:27], v[196:197], s[34:35], v[26:27]
	v_add_f64 v[2:3], v[8:9], v[2:3]
	v_fma_f64 v[8:9], v[222:223], s[46:47], v[28:29]
	v_fma_f64 v[28:29], v[222:223], s[36:37], v[28:29]
	v_add_f64 v[0:1], v[4:5], v[0:1]
	v_fma_f64 v[4:5], v[220:221], s[50:51], v[24:25]
	v_add_f64 v[6:7], v[6:7], v[120:121]
	v_mul_f64 v[120:121], v[234:235], s[56:57]
	v_mul_f64 v[234:235], v[234:235], s[50:51]
	v_fma_f64 v[24:25], v[220:221], s[42:43], v[24:25]
	v_add_f64 v[4:5], v[4:5], v[122:123]
	v_mul_f64 v[122:123], v[214:215], s[10:11]
	s_delay_alu instid0(VALU_DEP_2) | instskip(SKIP_1) | instid1(VALU_DEP_1)
	v_add_f64 v[4:5], v[8:9], v[4:5]
	v_fma_f64 v[8:9], v[204:205], s[22:23], -v[30:31]
	v_add_f64 v[6:7], v[8:9], v[6:7]
	v_fma_f64 v[8:9], v[228:229], s[52:53], v[32:33]
	s_delay_alu instid0(VALU_DEP_1) | instskip(SKIP_1) | instid1(VALU_DEP_1)
	v_add_f64 v[4:5], v[8:9], v[4:5]
	v_fma_f64 v[8:9], v[208:209], s[14:15], -v[34:35]
	v_add_f64 v[6:7], v[8:9], v[6:7]
	v_fma_f64 v[8:9], v[210:211], s[28:29], v[36:37]
	s_delay_alu instid0(VALU_DEP_1) | instskip(SKIP_1) | instid1(VALU_DEP_1)
	;; [unrolled: 5-line block ×5, first 2 shown]
	v_add_f64 v[6:7], v[6:7], v[4:5]
	v_fma_f64 v[4:5], v[202:203], s[10:11], -v[140:141]
	v_add_f64 v[4:5], v[4:5], v[8:9]
	v_fma_f64 v[8:9], v[220:221], s[40:41], v[20:21]
	v_fma_f64 v[20:21], v[220:221], s[44:45], v[20:21]
	s_waitcnt vmcnt(2)
	s_delay_alu instid0(VALU_DEP_2) | instskip(SKIP_3) | instid1(VALU_DEP_2)
	v_add_f64 v[8:9], v[8:9], v[10:11]
	v_fma_f64 v[10:11], v[196:197], s[30:31], -v[22:23]
	v_fma_f64 v[22:23], v[196:197], s[30:31], v[22:23]
	s_waitcnt vmcnt(1)
	v_add_f64 v[10:11], v[10:11], v[12:13]
	v_fma_f64 v[12:13], v[222:223], s[54:55], v[142:143]
	v_fma_f64 v[142:143], v[222:223], s[12:13], v[142:143]
	s_delay_alu instid0(VALU_DEP_2) | instskip(SKIP_1) | instid1(VALU_DEP_1)
	v_add_f64 v[8:9], v[12:13], v[8:9]
	v_fma_f64 v[12:13], v[228:229], s[28:29], v[144:145]
	v_add_f64 v[8:9], v[12:13], v[8:9]
	v_fma_f64 v[12:13], v[204:205], s[10:11], -v[146:147]
	s_delay_alu instid0(VALU_DEP_1) | instskip(SKIP_1) | instid1(VALU_DEP_1)
	v_add_f64 v[10:11], v[12:13], v[10:11]
	v_fma_f64 v[12:13], v[208:209], s[16:17], -v[148:149]
	v_add_f64 v[10:11], v[12:13], v[10:11]
	v_fma_f64 v[12:13], v[210:211], s[50:51], v[150:151]
	s_delay_alu instid0(VALU_DEP_1) | instskip(SKIP_1) | instid1(VALU_DEP_1)
	v_add_f64 v[8:9], v[12:13], v[8:9]
	v_fma_f64 v[12:13], v[224:225], s[34:35], -v[152:153]
	v_add_f64 v[10:11], v[12:13], v[10:11]
	v_fma_f64 v[12:13], v[226:227], s[58:59], v[154:155]
	;; [unrolled: 5-line block ×5, first 2 shown]
	v_fma_f64 v[16:17], v[220:221], s[36:37], v[16:17]
	s_waitcnt vmcnt(0)
	s_delay_alu instid0(VALU_DEP_2) | instskip(SKIP_2) | instid1(VALU_DEP_2)
	v_add_f64 v[12:13], v[12:13], v[14:15]
	v_fma_f64 v[14:15], v[196:197], s[22:23], -v[18:19]
	v_fma_f64 v[18:19], v[196:197], s[22:23], v[18:19]
	v_add_f64 v[14:15], v[14:15], v[178:179]
	v_mul_f64 v[178:179], v[212:213], s[14:15]
	s_delay_alu instid0(VALU_DEP_1) | instskip(SKIP_1) | instid1(VALU_DEP_2)
	v_fma_f64 v[180:181], v[222:223], s[18:19], v[178:179]
	v_fma_f64 v[178:179], v[222:223], s[52:53], v[178:179]
	v_add_f64 v[12:13], v[180:181], v[12:13]
	v_mul_f64 v[180:181], v[247:248], s[18:19]
	s_delay_alu instid0(VALU_DEP_1) | instskip(NEXT) | instid1(VALU_DEP_1)
	v_fma_f64 v[182:183], v[204:205], s[14:15], -v[180:181]
	v_add_f64 v[14:15], v[182:183], v[14:15]
	v_mul_f64 v[182:183], v[216:217], s[30:31]
	s_delay_alu instid0(VALU_DEP_1) | instskip(NEXT) | instid1(VALU_DEP_1)
	v_fma_f64 v[184:185], v[228:229], s[44:45], v[182:183]
	v_add_f64 v[12:13], v[184:185], v[12:13]
	v_mul_f64 v[184:185], v[251:252], s[44:45]
	v_mul_f64 v[251:252], v[214:215], s[16:17]
	s_delay_alu instid0(VALU_DEP_2) | instskip(NEXT) | instid1(VALU_DEP_1)
	v_fma_f64 v[186:187], v[208:209], s[30:31], -v[184:185]
	v_add_f64 v[14:15], v[186:187], v[14:15]
	v_mul_f64 v[186:187], v[230:231], s[20:21]
	s_delay_alu instid0(VALU_DEP_1) | instskip(NEXT) | instid1(VALU_DEP_1)
	v_fma_f64 v[188:189], v[210:211], s[58:59], v[186:187]
	v_add_f64 v[12:13], v[188:189], v[12:13]
	v_mul_f64 v[188:189], v[206:207], s[58:59]
	s_delay_alu instid0(VALU_DEP_1) | instskip(NEXT) | instid1(VALU_DEP_1)
	v_fma_f64 v[206:207], v[224:225], s[20:21], -v[188:189]
	v_add_f64 v[14:15], v[206:207], v[14:15]
	v_mul_f64 v[206:207], v[245:246], s[10:11]
	s_delay_alu instid0(VALU_DEP_1) | instskip(NEXT) | instid1(VALU_DEP_1)
	v_fma_f64 v[238:239], v[226:227], s[12:13], v[206:207]
	v_add_f64 v[12:13], v[238:239], v[12:13]
	v_fma_f64 v[238:239], v[241:242], s[10:11], -v[218:219]
	s_delay_alu instid0(VALU_DEP_1) | instskip(SKIP_1) | instid1(VALU_DEP_1)
	v_add_f64 v[14:15], v[238:239], v[14:15]
	v_mul_f64 v[238:239], v[253:254], s[34:35]
	v_fma_f64 v[247:248], v[243:244], s[50:51], v[238:239]
	s_delay_alu instid0(VALU_DEP_1) | instskip(SKIP_1) | instid1(VALU_DEP_1)
	v_add_f64 v[12:13], v[247:248], v[12:13]
	v_fma_f64 v[247:248], v[249:250], s[34:35], -v[234:235]
	v_add_f64 v[247:248], v[247:248], v[14:15]
	v_fma_f64 v[14:15], v[198:199], s[48:49], v[251:252]
	s_delay_alu instid0(VALU_DEP_1) | instskip(SKIP_1) | instid1(VALU_DEP_1)
	v_add_f64 v[14:15], v[14:15], v[12:13]
	v_fma_f64 v[12:13], v[202:203], s[16:17], -v[236:237]
	v_add_f64 v[12:13], v[12:13], v[247:248]
	scratch_load_b64 v[247:248], off, off offset:728 ; 8-byte Folded Reload
	s_waitcnt vmcnt(0)
	v_add_f64 v[16:17], v[16:17], v[247:248]
	scratch_load_b64 v[247:248], off, off offset:720 ; 8-byte Folded Reload
	v_add_f64 v[16:17], v[178:179], v[16:17]
	v_fma_f64 v[178:179], v[204:205], s[14:15], v[180:181]
	v_fma_f64 v[180:181], v[202:203], s[16:17], v[236:237]
	s_waitcnt vmcnt(0)
	v_add_f64 v[18:19], v[18:19], v[247:248]
	s_delay_alu instid0(VALU_DEP_1) | instskip(SKIP_1) | instid1(VALU_DEP_1)
	v_add_f64 v[18:19], v[178:179], v[18:19]
	v_fma_f64 v[178:179], v[228:229], s[40:41], v[182:183]
	v_add_f64 v[16:17], v[178:179], v[16:17]
	v_fma_f64 v[178:179], v[208:209], s[30:31], v[184:185]
	s_delay_alu instid0(VALU_DEP_1) | instskip(SKIP_1) | instid1(VALU_DEP_1)
	v_add_f64 v[18:19], v[178:179], v[18:19]
	v_fma_f64 v[178:179], v[210:211], s[24:25], v[186:187]
	v_add_f64 v[16:17], v[178:179], v[16:17]
	v_fma_f64 v[178:179], v[224:225], s[20:21], v[188:189]
	;; [unrolled: 5-line block ×4, first 2 shown]
	s_delay_alu instid0(VALU_DEP_1) | instskip(SKIP_1) | instid1(VALU_DEP_1)
	v_add_f64 v[178:179], v[178:179], v[18:19]
	v_fma_f64 v[18:19], v[198:199], s[28:29], v[251:252]
	v_add_f64 v[18:19], v[18:19], v[16:17]
	s_delay_alu instid0(VALU_DEP_3)
	v_add_f64 v[16:17], v[180:181], v[178:179]
	scratch_load_b64 v[178:179], off, off offset:712 ; 8-byte Folded Reload
	s_waitcnt vmcnt(0)
	v_add_f64 v[20:21], v[20:21], v[178:179]
	scratch_load_b64 v[178:179], off, off offset:704 ; 8-byte Folded Reload
	v_add_f64 v[20:21], v[142:143], v[20:21]
	v_fma_f64 v[142:143], v[204:205], s[10:11], v[146:147]
	s_waitcnt vmcnt(0)
	v_add_f64 v[22:23], v[22:23], v[178:179]
	s_delay_alu instid0(VALU_DEP_1) | instskip(SKIP_2) | instid1(VALU_DEP_2)
	v_add_f64 v[22:23], v[142:143], v[22:23]
	v_fma_f64 v[142:143], v[228:229], s[48:49], v[144:145]
	v_fma_f64 v[144:145], v[202:203], s[26:27], v[176:177]
	v_add_f64 v[20:21], v[142:143], v[20:21]
	v_fma_f64 v[142:143], v[208:209], s[16:17], v[148:149]
	s_delay_alu instid0(VALU_DEP_1) | instskip(SKIP_1) | instid1(VALU_DEP_1)
	v_add_f64 v[22:23], v[142:143], v[22:23]
	v_fma_f64 v[142:143], v[210:211], s[42:43], v[150:151]
	v_add_f64 v[20:21], v[142:143], v[20:21]
	v_fma_f64 v[142:143], v[224:225], s[34:35], v[152:153]
	s_delay_alu instid0(VALU_DEP_1) | instskip(SKIP_1) | instid1(VALU_DEP_1)
	v_add_f64 v[22:23], v[142:143], v[22:23]
	;; [unrolled: 5-line block ×4, first 2 shown]
	v_fma_f64 v[22:23], v[198:199], s[56:57], v[162:163]
	v_add_f64 v[22:23], v[22:23], v[20:21]
	s_delay_alu instid0(VALU_DEP_3) | instskip(SKIP_3) | instid1(VALU_DEP_1)
	v_add_f64 v[20:21], v[144:145], v[142:143]
	scratch_load_b64 v[142:143], off, off offset:696 ; 8-byte Folded Reload
	s_waitcnt vmcnt(0)
	v_add_f64 v[24:25], v[24:25], v[142:143]
	v_add_f64 v[24:25], v[28:29], v[24:25]
	v_fma_f64 v[28:29], v[228:229], s[18:19], v[32:33]
	v_fma_f64 v[32:33], v[202:203], s[10:11], v[140:141]
	s_delay_alu instid0(VALU_DEP_2)
	v_add_f64 v[24:25], v[28:29], v[24:25]
	scratch_load_b64 v[28:29], off, off offset:688 ; 8-byte Folded Reload
	s_waitcnt vmcnt(0)
	v_add_f64 v[26:27], v[26:27], v[28:29]
	v_fma_f64 v[28:29], v[204:205], s[22:23], v[30:31]
	v_fma_f64 v[30:31], v[208:209], s[14:15], v[34:35]
	scratch_load_b64 v[34:35], off, off offset:368 ; 8-byte Folded Reload
	v_add_f64 v[26:27], v[28:29], v[26:27]
	v_fma_f64 v[28:29], v[210:211], s[48:49], v[36:37]
	scratch_load_b64 v[36:37], off, off offset:352 ; 8-byte Folded Reload
	v_add_f64 v[26:27], v[30:31], v[26:27]
	v_fma_f64 v[30:31], v[226:227], s[40:41], v[44:45]
	v_add_f64 v[24:25], v[28:29], v[24:25]
	v_fma_f64 v[28:29], v[224:225], s[16:17], v[38:39]
	scratch_load_b64 v[38:39], off, off offset:376 ; 8-byte Folded Reload
	v_add_f64 v[24:25], v[30:31], v[24:25]
	v_add_f64 v[26:27], v[28:29], v[26:27]
	v_fma_f64 v[28:29], v[243:244], s[38:39], v[112:113]
	v_fma_f64 v[30:31], v[241:242], s[30:31], v[46:47]
	s_delay_alu instid0(VALU_DEP_2) | instskip(NEXT) | instid1(VALU_DEP_2)
	v_add_f64 v[24:25], v[28:29], v[24:25]
	v_add_f64 v[26:27], v[30:31], v[26:27]
	v_fma_f64 v[30:31], v[198:199], s[12:13], v[122:123]
	v_fma_f64 v[28:29], v[249:250], s[26:27], v[120:121]
	s_delay_alu instid0(VALU_DEP_1) | instskip(NEXT) | instid1(VALU_DEP_3)
	v_add_f64 v[28:29], v[28:29], v[26:27]
	v_add_f64 v[26:27], v[30:31], v[24:25]
	scratch_load_b64 v[30:31], off, off offset:344 ; 8-byte Folded Reload
	v_add_f64 v[24:25], v[32:33], v[28:29]
	scratch_load_b64 v[32:33], off, off offset:336 ; 8-byte Folded Reload
	v_mul_f64 v[28:29], v[200:201], s[10:11]
	s_waitcnt vmcnt(1)
	s_delay_alu instid0(VALU_DEP_1) | instskip(SKIP_2) | instid1(VALU_DEP_1)
	v_add_f64 v[28:29], v[30:31], v[28:29]
	v_mul_f64 v[30:31], v[196:197], s[10:11]
	s_waitcnt vmcnt(0)
	v_add_f64 v[30:31], v[30:31], -v[32:33]
	v_mul_f64 v[32:33], v[212:213], s[16:17]
	s_delay_alu instid0(VALU_DEP_1) | instskip(SKIP_4) | instid1(VALU_DEP_2)
	v_add_f64 v[32:33], v[34:35], v[32:33]
	scratch_load_b64 v[34:35], off, off offset:680 ; 8-byte Folded Reload
	s_waitcnt vmcnt(0)
	v_add_f64 v[28:29], v[28:29], v[34:35]
	v_mul_f64 v[34:35], v[204:205], s[16:17]
	v_add_f64 v[28:29], v[32:33], v[28:29]
	s_delay_alu instid0(VALU_DEP_2)
	v_add_f64 v[34:35], v[34:35], -v[36:37]
	scratch_load_b64 v[36:37], off, off offset:672 ; 8-byte Folded Reload
	v_mul_f64 v[32:33], v[208:209], s[20:21]
	s_waitcnt vmcnt(0)
	v_add_f64 v[30:31], v[30:31], v[36:37]
	v_mul_f64 v[36:37], v[216:217], s[20:21]
	s_delay_alu instid0(VALU_DEP_2) | instskip(NEXT) | instid1(VALU_DEP_2)
	v_add_f64 v[30:31], v[34:35], v[30:31]
	v_add_f64 v[36:37], v[38:39], v[36:37]
	scratch_load_b64 v[38:39], off, off offset:360 ; 8-byte Folded Reload
	v_mul_f64 v[34:35], v[230:231], s[22:23]
	v_add_f64 v[28:29], v[36:37], v[28:29]
	v_mul_f64 v[36:37], v[224:225], s[22:23]
	s_waitcnt vmcnt(0)
	v_add_f64 v[32:33], v[32:33], -v[38:39]
	scratch_load_b64 v[38:39], off, off offset:392 ; 8-byte Folded Reload
	v_add_f64 v[30:31], v[32:33], v[30:31]
	v_mul_f64 v[32:33], v[245:246], s[26:27]
	s_waitcnt vmcnt(0)
	v_add_f64 v[34:35], v[38:39], v[34:35]
	scratch_load_b64 v[38:39], off, off offset:384 ; 8-byte Folded Reload
	v_add_f64 v[28:29], v[34:35], v[28:29]
	v_mul_f64 v[34:35], v[241:242], s[26:27]
	s_waitcnt vmcnt(0)
	v_add_f64 v[36:37], v[36:37], -v[38:39]
	scratch_load_b64 v[38:39], off, off offset:408 ; 8-byte Folded Reload
	v_add_f64 v[30:31], v[36:37], v[30:31]
	v_mul_f64 v[36:37], v[253:254], s[30:31]
	s_waitcnt vmcnt(0)
	v_add_f64 v[32:33], v[38:39], v[32:33]
	scratch_load_b64 v[38:39], off, off offset:400 ; 8-byte Folded Reload
	;; [unrolled: 10-line block ×3, first 2 shown]
	v_add_f64 v[28:29], v[36:37], v[28:29]
	v_mul_f64 v[36:37], v[202:203], s[34:35]
	s_waitcnt vmcnt(0)
	v_add_f64 v[32:33], v[32:33], -v[38:39]
	scratch_load_b64 v[38:39], off, off offset:440 ; 8-byte Folded Reload
	v_add_f64 v[32:33], v[32:33], v[30:31]
	s_waitcnt vmcnt(0)
	v_add_f64 v[34:35], v[38:39], v[34:35]
	scratch_load_b64 v[38:39], off, off offset:432 ; 8-byte Folded Reload
	v_add_f64 v[30:31], v[34:35], v[28:29]
	s_waitcnt vmcnt(0)
	v_add_f64 v[36:37], v[36:37], -v[38:39]
	s_delay_alu instid0(VALU_DEP_1)
	v_add_f64 v[28:29], v[36:37], v[32:33]
	s_clause 0x1
	scratch_load_b64 v[32:33], off, off offset:616
	scratch_load_b64 v[34:35], off, off offset:656
	s_waitcnt vmcnt(0)
	v_add_f64 v[32:33], v[34:35], v[32:33]
	s_clause 0x1
	scratch_load_b64 v[34:35], off, off offset:632
	scratch_load_b64 v[36:37], off, off offset:664
	s_waitcnt vmcnt(0)
	v_add_f64 v[34:35], v[36:37], v[34:35]
	scratch_load_b64 v[36:37], off, off offset:648 ; 8-byte Folded Reload
	v_add_f64 v[34:35], v[34:35], v[100:101]
	s_waitcnt vmcnt(0)
	v_add_f64 v[32:33], v[32:33], v[36:37]
	scratch_load_b64 v[36:37], off, off offset:544 ; 8-byte Folded Reload
	s_waitcnt vmcnt(0)
	v_add_f64 v[32:33], v[32:33], v[36:37]
	scratch_load_b64 v[36:37], off, off offset:560 ; 8-byte Folded Reload
	;; [unrolled: 3-line block ×8, first 2 shown]
	v_add_f64 v[32:33], v[32:33], v[98:99]
	s_delay_alu instid0(VALU_DEP_1) | instskip(NEXT) | instid1(VALU_DEP_1)
	v_add_f64 v[32:33], v[32:33], v[192:193]
	v_add_f64 v[32:33], v[32:33], v[114:115]
	s_waitcnt vmcnt(0)
	v_add_f64 v[34:35], v[34:35], v[36:37]
	scratch_load_b64 v[36:37], off, off offset:312 ; 8-byte Folded Reload
	v_add_f64 v[34:35], v[34:35], v[190:191]
	s_delay_alu instid0(VALU_DEP_1) | instskip(NEXT) | instid1(VALU_DEP_1)
	v_add_f64 v[34:35], v[34:35], v[194:195]
	v_add_f64 v[34:35], v[34:35], v[96:97]
	s_waitcnt vmcnt(0)
	v_add_f64 v[32:33], v[32:33], v[36:37]
	scratch_load_b64 v[36:37], off, off offset:536 ; 8-byte Folded Reload
	s_waitcnt vmcnt(0)
	v_add_f64 v[34:35], v[34:35], v[36:37]
	scratch_load_b64 v[36:37], off, off offset:296 ; 8-byte Folded Reload
	;; [unrolled: 3-line block ×7, first 2 shown]
	v_add_f64 v[32:33], v[32:33], v[102:103]
	s_waitcnt vmcnt(0)
	v_add_f64 v[34:35], v[34:35], v[36:37]
	scratch_load_b64 v[36:37], off, off offset:576 ; 8-byte Folded Reload
	s_waitcnt vmcnt(0)
	v_add_f64 v[36:37], v[34:35], v[36:37]
	v_add_f64 v[34:35], v[32:33], v[232:233]
	scratch_load_b64 v[32:33], off, off offset:496 ; 8-byte Folded Reload
	s_waitcnt vmcnt(0)
	v_add_f64 v[32:33], v[36:37], v[32:33]
	s_clause 0x1
	scratch_load_b32 v36, off, off offset:200
	scratch_load_b32 v37, off, off offset:204
	s_waitcnt vmcnt(1)
	v_and_b32_e32 v36, 0xffff, v36
	s_delay_alu instid0(VALU_DEP_1) | instskip(SKIP_1) | instid1(VALU_DEP_1)
	v_mul_u32_u24_e32 v36, 51, v36
	s_waitcnt vmcnt(0)
	v_add_lshl_u32 v36, v36, v37, 4
	ds_store_b128 v36, v[136:139] offset:96
	ds_store_b128 v36, v[172:175] offset:672
	ds_store_b128 v36, v[164:167] offset:720
	ds_store_b128 v36, v[0:3] offset:144
	ds_store_b128 v36, v[4:7] offset:192
	ds_store_b128 v36, v[8:11] offset:240
	ds_store_b128 v36, v[12:15] offset:288
	ds_store_b128 v36, v[40:43] offset:336
	ds_store_b128 v36, v[88:91] offset:384
	ds_store_b128 v36, v[84:87] offset:432
	ds_store_b128 v36, v[92:95] offset:480
	ds_store_b128 v36, v[16:19] offset:528
	ds_store_b128 v36, v[20:23] offset:576
	ds_store_b128 v36, v[24:27] offset:624
	ds_store_b128 v36, v[28:31] offset:48
	ds_store_b128 v36, v[32:35]
	ds_store_b128 v36, v[48:51] offset:768
.LBB0_11:
	s_or_b32 exec_lo, exec_lo, s1
	v_mad_u64_u32 v[0:1], null, 0x60, v240, s[2:3]
	s_waitcnt lgkmcnt(0)
	s_waitcnt_vscnt null, 0x0
	s_barrier
	buffer_gl0_inv
	s_mov_b32 s18, 0xe976ee23
	s_mov_b32 s19, 0xbfe11646
	;; [unrolled: 1-line block ×3, first 2 shown]
	s_clause 0x4
	global_load_b128 v[92:95], v[0:1], off offset:768
	global_load_b128 v[88:91], v[0:1], off offset:784
	;; [unrolled: 1-line block ×5, first 2 shown]
	ds_load_b128 v[2:5], v255 offset:1632
	ds_load_b128 v[6:9], v255 offset:3264
	;; [unrolled: 1-line block ×6, first 2 shown]
	global_load_b128 v[120:123], v[0:1], off offset:816
	ds_load_b128 v[22:25], v255 offset:10608
	s_mov_b32 s14, 0xaaaaaaaa
	s_mov_b32 s11, 0x3febfeb5
	;; [unrolled: 1-line block ×17, first 2 shown]
	s_waitcnt vmcnt(5) lgkmcnt(6)
	v_mul_f64 v[30:31], v[4:5], v[94:95]
	s_waitcnt vmcnt(4) lgkmcnt(5)
	v_mul_f64 v[34:35], v[8:9], v[90:91]
	v_mul_f64 v[36:37], v[6:7], v[90:91]
	v_mul_f64 v[32:33], v[2:3], v[94:95]
	s_waitcnt vmcnt(3) lgkmcnt(4)
	v_mul_f64 v[38:39], v[12:13], v[98:99]
	v_mul_f64 v[40:41], v[10:11], v[98:99]
	v_fma_f64 v[30:31], v[2:3], v[92:93], -v[30:31]
	v_fma_f64 v[34:35], v[6:7], v[88:89], -v[34:35]
	v_fma_f64 v[36:37], v[8:9], v[88:89], v[36:37]
	s_waitcnt vmcnt(2) lgkmcnt(1)
	v_mul_f64 v[6:7], v[28:29], v[102:103]
	v_mul_f64 v[8:9], v[26:27], v[102:103]
	v_fma_f64 v[32:33], v[4:5], v[92:93], v[32:33]
	ds_load_b128 v[2:5], v255 offset:8976
	v_fma_f64 v[38:39], v[10:11], v[96:97], -v[38:39]
	v_fma_f64 v[40:41], v[12:13], v[96:97], v[40:41]
	v_fma_f64 v[26:27], v[26:27], v[100:101], -v[6:7]
	v_fma_f64 v[28:29], v[28:29], v[100:101], v[8:9]
	v_mul_f64 v[6:7], v[16:17], v[94:95]
	v_mul_f64 v[8:9], v[14:15], v[94:95]
	v_add_f64 v[154:155], v[32:33], v[40:41]
	s_delay_alu instid0(VALU_DEP_4) | instskip(NEXT) | instid1(VALU_DEP_4)
	v_add_f64 v[156:157], v[36:37], v[28:29]
	v_fma_f64 v[42:43], v[14:15], v[92:93], -v[6:7]
	s_delay_alu instid0(VALU_DEP_4) | instskip(SKIP_2) | instid1(VALU_DEP_2)
	v_fma_f64 v[44:45], v[16:17], v[92:93], v[8:9]
	v_mul_f64 v[6:7], v[20:21], v[90:91]
	v_mul_f64 v[8:9], v[18:19], v[90:91]
	v_fma_f64 v[46:47], v[18:19], v[88:89], -v[6:7]
	s_delay_alu instid0(VALU_DEP_2) | instskip(SKIP_3) | instid1(VALU_DEP_2)
	v_fma_f64 v[136:137], v[20:21], v[88:89], v[8:9]
	s_waitcnt lgkmcnt(1)
	v_mul_f64 v[6:7], v[24:25], v[98:99]
	v_mul_f64 v[8:9], v[22:23], v[98:99]
	v_fma_f64 v[138:139], v[22:23], v[96:97], -v[6:7]
	s_delay_alu instid0(VALU_DEP_2)
	v_fma_f64 v[140:141], v[24:25], v[96:97], v[8:9]
	s_waitcnt lgkmcnt(0)
	v_mul_f64 v[6:7], v[4:5], v[102:103]
	v_mul_f64 v[8:9], v[2:3], v[102:103]
	v_add_f64 v[22:23], v[30:31], v[38:39]
	v_add_f64 v[30:31], v[30:31], -v[38:39]
	v_add_f64 v[162:163], v[42:43], v[138:139]
	v_add_f64 v[42:43], v[42:43], -v[138:139]
	v_fma_f64 v[142:143], v[2:3], v[100:101], -v[6:7]
	v_fma_f64 v[144:145], v[4:5], v[100:101], v[8:9]
	ds_load_b128 v[2:5], v255 offset:4896
	ds_load_b128 v[6:9], v255 offset:5712
	v_add_f64 v[182:183], v[44:45], v[140:141]
	v_add_f64 v[44:45], v[44:45], -v[140:141]
	s_waitcnt vmcnt(1) lgkmcnt(1)
	v_mul_f64 v[10:11], v[4:5], v[114:115]
	v_add_f64 v[176:177], v[46:47], v[142:143]
	v_add_f64 v[184:185], v[136:137], v[144:145]
	s_delay_alu instid0(VALU_DEP_3) | instskip(SKIP_1) | instid1(VALU_DEP_4)
	v_fma_f64 v[14:15], v[2:3], v[112:113], -v[10:11]
	v_mul_f64 v[2:3], v[2:3], v[114:115]
	v_add_f64 v[180:181], v[176:177], v[162:163]
	s_delay_alu instid0(VALU_DEP_4) | instskip(NEXT) | instid1(VALU_DEP_3)
	v_add_f64 v[188:189], v[184:185], v[182:183]
	v_fma_f64 v[16:17], v[4:5], v[112:113], v[2:3]
	ds_load_b128 v[2:5], v255 offset:6528
	ds_load_b128 v[10:13], v255 offset:7344
	s_waitcnt vmcnt(0) lgkmcnt(1)
	v_mul_f64 v[18:19], v[4:5], v[122:123]
	s_delay_alu instid0(VALU_DEP_1) | instskip(SKIP_1) | instid1(VALU_DEP_2)
	v_fma_f64 v[18:19], v[2:3], v[120:121], -v[18:19]
	v_mul_f64 v[2:3], v[2:3], v[122:123]
	v_add_f64 v[24:25], v[14:15], v[18:19]
	s_delay_alu instid0(VALU_DEP_2)
	v_fma_f64 v[20:21], v[4:5], v[120:121], v[2:3]
	v_mul_f64 v[2:3], v[8:9], v[114:115]
	v_add_f64 v[18:19], v[18:19], -v[14:15]
	v_add_f64 v[14:15], v[36:37], -v[28:29]
	;; [unrolled: 1-line block ×3, first 2 shown]
	v_add_f64 v[158:159], v[16:17], v[20:21]
	v_fma_f64 v[146:147], v[6:7], v[112:113], -v[2:3]
	v_mul_f64 v[2:3], v[6:7], v[114:115]
	v_add_f64 v[20:21], v[20:21], -v[16:17]
	v_add_f64 v[36:37], v[14:15], -v[28:29]
	;; [unrolled: 1-line block ×3, first 2 shown]
	s_delay_alu instid0(VALU_DEP_4) | instskip(SKIP_2) | instid1(VALU_DEP_1)
	v_fma_f64 v[148:149], v[8:9], v[112:113], v[2:3]
	s_waitcnt lgkmcnt(0)
	v_mul_f64 v[2:3], v[12:13], v[122:123]
	v_fma_f64 v[150:151], v[10:11], v[120:121], -v[2:3]
	v_mul_f64 v[2:3], v[10:11], v[122:123]
	v_add_f64 v[10:11], v[34:35], v[26:27]
	v_add_f64 v[26:27], v[34:35], -v[26:27]
	v_add_f64 v[34:35], v[20:21], -v[14:15]
	v_add_f64 v[14:15], v[20:21], v[14:15]
	v_add_f64 v[178:179], v[146:147], v[150:151]
	v_fma_f64 v[152:153], v[12:13], v[120:121], v[2:3]
	v_add_f64 v[2:3], v[10:11], v[22:23]
	v_add_f64 v[16:17], v[18:19], -v[26:27]
	v_add_f64 v[32:33], v[26:27], -v[30:31]
	v_add_f64 v[26:27], v[18:19], v[26:27]
	v_add_f64 v[38:39], v[24:25], -v[10:11]
	v_add_f64 v[40:41], v[10:11], -v[22:23]
	v_mul_f64 v[34:35], v[34:35], s[18:19]
	v_add_f64 v[22:23], v[22:23], -v[24:25]
	v_add_f64 v[194:195], v[14:15], v[28:29]
	v_add_f64 v[28:29], v[28:29], -v[20:21]
	v_mul_f64 v[20:21], v[36:37], s[10:11]
	v_mul_f64 v[14:15], v[190:191], s[2:3]
	v_add_f64 v[180:181], v[178:179], v[180:181]
	v_add_f64 v[186:187], v[148:149], v[152:153]
	;; [unrolled: 1-line block ×4, first 2 shown]
	v_mul_f64 v[192:193], v[16:17], s[18:19]
	v_add_f64 v[26:27], v[26:27], v[30:31]
	v_add_f64 v[24:25], v[154:155], -v[158:159]
	v_add_f64 v[30:31], v[30:31], -v[18:19]
	v_mul_f64 v[18:19], v[32:33], s[10:11]
	v_add_f64 v[156:157], v[156:157], -v[154:155]
	v_mul_f64 v[10:11], v[38:39], s[2:3]
	v_fma_f64 v[20:21], v[28:29], s[26:27], -v[20:21]
	v_fma_f64 v[28:29], v[28:29], s[20:21], v[34:35]
	v_add_f64 v[188:189], v[186:187], v[188:189]
	v_add_f64 v[160:161], v[158:159], v[2:3]
	ds_load_b128 v[2:5], v255
	ds_load_b128 v[6:9], v255 offset:816
	s_waitcnt lgkmcnt(0)
	s_barrier
	buffer_gl0_inv
	v_fma_f64 v[18:19], v[30:31], s[26:27], -v[18:19]
	v_fma_f64 v[30:31], v[30:31], s[20:21], v[192:193]
	v_fma_f64 v[10:11], v[40:41], s[16:17], -v[10:11]
	v_fma_f64 v[14:15], v[156:157], s[16:17], -v[14:15]
	v_fma_f64 v[154:155], v[194:195], s[12:13], v[20:21]
	v_add_f64 v[2:3], v[2:3], v[12:13]
	v_add_f64 v[6:7], v[6:7], v[180:181]
	v_add_f64 v[8:9], v[8:9], v[188:189]
	v_add_f64 v[4:5], v[4:5], v[160:161]
	s_delay_alu instid0(VALU_DEP_4)
	v_fma_f64 v[196:197], v[12:13], s[14:15], v[2:3]
	v_fma_f64 v[12:13], v[32:33], s[10:11], -v[192:193]
	v_mul_f64 v[32:33], v[22:23], s[22:23]
	v_fma_f64 v[158:159], v[180:181], s[14:15], v[6:7]
	v_fma_f64 v[160:161], v[160:161], s[14:15], v[4:5]
	v_add_f64 v[200:201], v[10:11], v[196:197]
	v_fma_f64 v[16:17], v[26:27], s[12:13], v[12:13]
	v_fma_f64 v[12:13], v[36:37], s[10:11], -v[34:35]
	v_mul_f64 v[36:37], v[24:25], s[22:23]
	v_fma_f64 v[22:23], v[40:41], s[24:25], -v[32:33]
	v_fma_f64 v[32:33], v[38:39], s[2:3], v[32:33]
	v_fma_f64 v[40:41], v[26:27], s[12:13], v[18:19]
	v_add_f64 v[202:203], v[14:15], v[160:161]
	v_fma_f64 v[198:199], v[194:195], s[12:13], v[12:13]
	v_fma_f64 v[34:35], v[190:191], s[2:3], v[36:37]
	v_fma_f64 v[24:25], v[156:157], s[24:25], -v[36:37]
	v_fma_f64 v[36:37], v[26:27], s[12:13], v[30:31]
	v_fma_f64 v[30:31], v[194:195], s[12:13], v[28:29]
	v_add_f64 v[32:33], v[32:33], v[196:197]
	v_add_f64 v[22:23], v[22:23], v[196:197]
	;; [unrolled: 1-line block ×3, first 2 shown]
	v_add_f64 v[16:17], v[202:203], -v[16:17]
	v_add_f64 v[10:11], v[200:201], -v[198:199]
	v_add_f64 v[34:35], v[34:35], v[160:161]
	v_add_f64 v[24:25], v[24:25], v[160:161]
	v_fma_f64 v[160:161], v[188:189], s[14:15], v[8:9]
	v_add_f64 v[14:15], v[198:199], v[200:201]
	v_add_f64 v[26:27], v[30:31], v[32:33]
	v_add_f64 v[30:31], v[32:33], -v[30:31]
	v_add_f64 v[18:19], v[154:155], v[22:23]
	v_add_f64 v[22:23], v[22:23], -v[154:155]
	v_add_f64 v[28:29], v[34:35], -v[36:37]
	v_add_f64 v[32:33], v[36:37], v[34:35]
	v_add_f64 v[34:35], v[46:47], -v[142:143]
	v_add_f64 v[46:47], v[150:151], -v[146:147]
	;; [unrolled: 1-line block ×5, first 2 shown]
	v_add_f64 v[24:25], v[40:41], v[24:25]
	v_add_f64 v[144:145], v[178:179], -v[176:177]
	v_add_f64 v[142:143], v[176:177], -v[162:163]
	v_add_f64 v[162:163], v[162:163], -v[178:179]
	v_add_f64 v[146:147], v[186:187], -v[184:185]
	v_add_f64 v[148:149], v[184:185], -v[182:183]
	ds_store_b128 v255, v[2:5]
	ds_store_b128 v255, v[26:29] offset:816
	ds_store_b128 v255, v[18:21] offset:1632
	;; [unrolled: 1-line block ×4, first 2 shown]
	v_add_f64 v[38:39], v[46:47], -v[34:35]
	v_add_f64 v[138:139], v[34:35], -v[42:43]
	v_add_f64 v[34:35], v[46:47], v[34:35]
	v_add_f64 v[40:41], v[136:137], -v[36:37]
	v_add_f64 v[140:141], v[36:37], -v[44:45]
	v_add_f64 v[36:37], v[136:137], v[36:37]
	v_mul_f64 v[162:163], v[162:163], s[22:23]
	v_mul_i32_i24_e32 v2, 0xffffffb0, v240
	v_mul_hi_i32_i24_e32 v3, 0xffffffb0, v240
	ds_store_b128 v255, v[22:25] offset:4080
	v_add_co_u32 v26, s1, v0, v2
	s_delay_alu instid0(VALU_DEP_1) | instskip(NEXT) | instid1(VALU_DEP_2)
	v_add_co_ci_u32_e64 v27, s1, v1, v3, s1
	v_add_co_u32 v0, s1, 0x1000, v26
	s_delay_alu instid0(VALU_DEP_1)
	v_add_co_ci_u32_e64 v1, s1, 0, v27, s1
	v_mul_f64 v[150:151], v[38:39], s[18:19]
	v_add_f64 v[154:155], v[34:35], v[42:43]
	v_mul_f64 v[152:153], v[40:41], s[18:19]
	v_mul_f64 v[34:35], v[144:145], s[2:3]
	v_add_f64 v[156:157], v[36:37], v[44:45]
	v_add_f64 v[42:43], v[42:43], -v[46:47]
	v_add_f64 v[44:45], v[44:45], -v[136:137]
	v_mul_f64 v[46:47], v[138:139], s[10:11]
	v_mul_f64 v[136:137], v[140:141], s[10:11]
	;; [unrolled: 1-line block ×3, first 2 shown]
	v_fma_f64 v[38:39], v[138:139], s[10:11], -v[150:151]
	v_fma_f64 v[138:139], v[142:143], s[24:25], -v[162:163]
	;; [unrolled: 1-line block ×6, first 2 shown]
	v_fma_f64 v[42:43], v[42:43], s[20:21], v[150:151]
	v_fma_f64 v[44:45], v[44:45], s[20:21], v[152:153]
	;; [unrolled: 1-line block ×3, first 2 shown]
	v_fma_f64 v[38:39], v[140:141], s[10:11], -v[152:153]
	v_add_f64 v[176:177], v[34:35], v[158:159]
	v_fma_f64 v[46:47], v[154:155], s[12:13], v[46:47]
	v_fma_f64 v[142:143], v[156:157], s[12:13], v[136:137]
	v_add_f64 v[180:181], v[36:37], v[160:161]
	v_fma_f64 v[42:43], v[154:155], s[12:13], v[42:43]
	v_fma_f64 v[44:45], v[156:157], s[12:13], v[44:45]
	;; [unrolled: 1-line block ×3, first 2 shown]
	s_delay_alu instid0(VALU_DEP_4) | instskip(SKIP_1) | instid1(VALU_DEP_3)
	v_add_f64 v[36:37], v[40:41], v[180:181]
	v_add_f64 v[40:41], v[180:181], -v[40:41]
	v_add_f64 v[34:35], v[176:177], -v[38:39]
	v_add_f64 v[38:39], v[38:39], v[176:177]
	v_add_f64 v[176:177], v[182:183], -v[186:187]
	s_delay_alu instid0(VALU_DEP_1) | instskip(NEXT) | instid1(VALU_DEP_1)
	v_mul_f64 v[176:177], v[176:177], s[22:23]
	v_fma_f64 v[140:141], v[148:149], s[24:25], -v[176:177]
	v_add_f64 v[148:149], v[138:139], v[158:159]
	s_delay_alu instid0(VALU_DEP_2) | instskip(NEXT) | instid1(VALU_DEP_2)
	v_add_f64 v[178:179], v[140:141], v[160:161]
	v_add_f64 v[136:137], v[142:143], v[148:149]
	v_add_f64 v[140:141], v[148:149], -v[142:143]
	s_delay_alu instid0(VALU_DEP_3) | instskip(SKIP_3) | instid1(VALU_DEP_2)
	v_add_f64 v[138:139], v[178:179], -v[46:47]
	v_add_f64 v[142:143], v[46:47], v[178:179]
	v_fma_f64 v[46:47], v[144:145], s[2:3], v[162:163]
	v_fma_f64 v[144:145], v[146:147], s[2:3], v[176:177]
	v_add_f64 v[46:47], v[46:47], v[158:159]
	s_delay_alu instid0(VALU_DEP_2) | instskip(NEXT) | instid1(VALU_DEP_2)
	v_add_f64 v[150:151], v[144:145], v[160:161]
	v_add_f64 v[144:145], v[44:45], v[46:47]
	s_delay_alu instid0(VALU_DEP_2)
	v_add_f64 v[146:147], v[150:151], -v[42:43]
	v_add_f64 v[148:149], v[46:47], -v[44:45]
	v_add_f64 v[150:151], v[42:43], v[150:151]
	ds_store_b128 v255, v[6:9] offset:5712
	ds_store_b128 v255, v[30:33] offset:4896
	;; [unrolled: 1-line block ×8, first 2 shown]
	s_waitcnt lgkmcnt(0)
	s_barrier
	buffer_gl0_inv
	s_clause 0x3
	global_load_b128 v[136:139], v[0:1], off offset:1568
	global_load_b128 v[152:155], v[0:1], off offset:2384
	;; [unrolled: 1-line block ×4, first 2 shown]
	ds_load_b128 v[0:3], v255 offset:5712
	ds_load_b128 v[4:7], v255 offset:4896
	;; [unrolled: 1-line block ×4, first 2 shown]
	s_waitcnt vmcnt(3) lgkmcnt(3)
	v_mul_f64 v[16:17], v[2:3], v[138:139]
	v_mul_f64 v[18:19], v[0:1], v[138:139]
	s_delay_alu instid0(VALU_DEP_2) | instskip(NEXT) | instid1(VALU_DEP_2)
	v_fma_f64 v[16:17], v[0:1], v[136:137], -v[16:17]
	v_fma_f64 v[18:19], v[2:3], v[136:137], v[18:19]
	s_waitcnt vmcnt(2) lgkmcnt(1)
	v_mul_f64 v[0:1], v[10:11], v[154:155]
	v_mul_f64 v[2:3], v[8:9], v[154:155]
	s_delay_alu instid0(VALU_DEP_2) | instskip(NEXT) | instid1(VALU_DEP_2)
	v_fma_f64 v[20:21], v[8:9], v[152:153], -v[0:1]
	v_fma_f64 v[22:23], v[10:11], v[152:153], v[2:3]
	;; [unrolled: 6-line block ×3, first 2 shown]
	ds_load_b128 v[0:3], v255 offset:8160
	ds_load_b128 v[8:11], v255 offset:8976
	s_waitcnt vmcnt(0) lgkmcnt(1)
	v_mul_f64 v[12:13], v[2:3], v[142:143]
	s_delay_alu instid0(VALU_DEP_1) | instskip(SKIP_1) | instid1(VALU_DEP_1)
	v_fma_f64 v[32:33], v[0:1], v[140:141], -v[12:13]
	v_add_co_u32 v12, s1, 0x2000, v26
	v_add_co_ci_u32_e64 v13, s1, 0, v27, s1
	s_clause 0x1
	global_load_b128 v[160:163], v[12:13], off offset:736
	global_load_b128 v[156:159], v[12:13], off offset:1552
	v_mul_f64 v[0:1], v[0:1], v[142:143]
	s_delay_alu instid0(VALU_DEP_1) | instskip(SKIP_2) | instid1(VALU_DEP_1)
	v_fma_f64 v[34:35], v[2:3], v[140:141], v[0:1]
	s_waitcnt vmcnt(1) lgkmcnt(0)
	v_mul_f64 v[0:1], v[10:11], v[162:163]
	v_fma_f64 v[44:45], v[8:9], v[160:161], -v[0:1]
	v_mul_f64 v[0:1], v[8:9], v[162:163]
	s_delay_alu instid0(VALU_DEP_1)
	v_fma_f64 v[46:47], v[10:11], v[160:161], v[0:1]
	ds_load_b128 v[0:3], v255 offset:9792
	ds_load_b128 v[8:11], v255 offset:10608
	global_load_b128 v[232:235], v[12:13], off offset:2368
	s_waitcnt vmcnt(1) lgkmcnt(1)
	v_mul_f64 v[14:15], v[2:3], v[158:159]
	s_delay_alu instid0(VALU_DEP_1) | instskip(SKIP_1) | instid1(VALU_DEP_1)
	v_fma_f64 v[180:181], v[0:1], v[156:157], -v[14:15]
	v_mul_f64 v[0:1], v[0:1], v[158:159]
	v_fma_f64 v[182:183], v[2:3], v[156:157], v[0:1]
	s_waitcnt vmcnt(0) lgkmcnt(0)
	v_mul_f64 v[0:1], v[10:11], v[234:235]
	s_delay_alu instid0(VALU_DEP_1) | instskip(SKIP_1) | instid1(VALU_DEP_2)
	v_fma_f64 v[184:185], v[8:9], v[232:233], -v[0:1]
	v_mul_f64 v[0:1], v[8:9], v[234:235]
	v_add_f64 v[184:185], v[4:5], -v[184:185]
	s_delay_alu instid0(VALU_DEP_2)
	v_fma_f64 v[186:187], v[10:11], v[232:233], v[0:1]
	ds_load_b128 v[0:3], v255
	ds_load_b128 v[8:11], v255 offset:816
	s_waitcnt lgkmcnt(1)
	v_add_f64 v[12:13], v[0:1], -v[16:17]
	v_add_f64 v[14:15], v[2:3], -v[18:19]
	s_waitcnt lgkmcnt(0)
	v_add_f64 v[16:17], v[8:9], -v[20:21]
	v_add_f64 v[18:19], v[10:11], -v[22:23]
	ds_load_b128 v[20:23], v255 offset:1632
	ds_load_b128 v[24:27], v255 offset:2448
	;; [unrolled: 1-line block ×4, first 2 shown]
	v_add_f64 v[186:187], v[6:7], -v[186:187]
	s_waitcnt lgkmcnt(3)
	v_add_f64 v[28:29], v[20:21], -v[28:29]
	v_add_f64 v[30:31], v[22:23], -v[30:31]
	s_waitcnt lgkmcnt(2)
	v_add_f64 v[32:33], v[24:25], -v[32:33]
	;; [unrolled: 3-line block ×4, first 2 shown]
	v_add_f64 v[190:191], v[42:43], -v[182:183]
	v_fma_f64 v[180:181], v[4:5], 2.0, -v[184:185]
	v_add_co_u32 v44, s1, 0x5000, v132
	s_delay_alu instid0(VALU_DEP_1)
	v_add_co_ci_u32_e64 v45, s1, 0, v133, s1
	v_fma_f64 v[0:1], v[0:1], 2.0, -v[12:13]
	v_fma_f64 v[2:3], v[2:3], 2.0, -v[14:15]
	;; [unrolled: 1-line block ×13, first 2 shown]
	ds_store_b128 v255, v[16:19] offset:6528
	ds_store_b128 v255, v[28:31] offset:7344
	;; [unrolled: 1-line block ×6, first 2 shown]
	ds_store_b128 v255, v[0:3]
	ds_store_b128 v255, v[8:11] offset:816
	ds_store_b128 v255, v[20:23] offset:1632
	;; [unrolled: 1-line block ×7, first 2 shown]
	s_waitcnt lgkmcnt(0)
	s_barrier
	buffer_gl0_inv
	global_load_b128 v[0:3], v[134:135], off offset:3232
	ds_load_b128 v[4:7], v255
	ds_load_b128 v[8:11], v255 offset:816
	global_load_b128 v[12:15], v[44:45], off offset:1008
	s_waitcnt vmcnt(1) lgkmcnt(1)
	v_mul_f64 v[16:17], v[6:7], v[2:3]
	v_mul_f64 v[18:19], v[4:5], v[2:3]
	s_delay_alu instid0(VALU_DEP_2) | instskip(NEXT) | instid1(VALU_DEP_2)
	v_fma_f64 v[2:3], v[4:5], v[0:1], -v[16:17]
	v_fma_f64 v[4:5], v[6:7], v[0:1], v[18:19]
	v_add_co_u32 v0, s1, 0x2ca0, v132
	s_delay_alu instid0(VALU_DEP_1)
	v_add_co_ci_u32_e64 v1, s1, 0, v133, s1
	global_load_b128 v[16:19], v[0:1], off offset:3808
	ds_load_b128 v[20:23], v255 offset:3808
	ds_load_b128 v[24:27], v255 offset:4624
	global_load_b128 v[28:31], v[0:1], off offset:2448
	ds_load_b128 v[36:39], v255 offset:7616
	ds_load_b128 v[176:179], v255 offset:8432
	s_waitcnt vmcnt(1) lgkmcnt(3)
	v_mul_f64 v[6:7], v[22:23], v[18:19]
	v_mul_f64 v[32:33], v[20:21], v[18:19]
	s_delay_alu instid0(VALU_DEP_2) | instskip(NEXT) | instid1(VALU_DEP_2)
	v_fma_f64 v[18:19], v[20:21], v[16:17], -v[6:7]
	v_fma_f64 v[20:21], v[22:23], v[16:17], v[32:33]
	v_add_co_u32 v16, s1, 0x4000, v132
	s_delay_alu instid0(VALU_DEP_1)
	v_add_co_ci_u32_e64 v17, s1, 0, v133, s1
	s_clause 0x3
	global_load_b128 v[32:35], v[16:17], off offset:2656
	global_load_b128 v[40:43], v[16:17], off offset:3472
	;; [unrolled: 1-line block ×4, first 2 shown]
	s_waitcnt vmcnt(3) lgkmcnt(1)
	v_mul_f64 v[6:7], v[38:39], v[34:35]
	v_mul_f64 v[22:23], v[36:37], v[34:35]
	s_delay_alu instid0(VALU_DEP_2) | instskip(NEXT) | instid1(VALU_DEP_2)
	v_fma_f64 v[34:35], v[36:37], v[32:33], -v[6:7]
	v_fma_f64 v[36:37], v[38:39], v[32:33], v[22:23]
	s_waitcnt vmcnt(1)
	v_mul_f64 v[6:7], v[10:11], v[190:191]
	v_mul_f64 v[22:23], v[8:9], v[190:191]
	s_delay_alu instid0(VALU_DEP_2) | instskip(NEXT) | instid1(VALU_DEP_2)
	v_fma_f64 v[6:7], v[8:9], v[188:189], -v[6:7]
	v_fma_f64 v[8:9], v[10:11], v[188:189], v[22:23]
	v_add_co_u32 v10, s1, 0x3000, v132
	s_delay_alu instid0(VALU_DEP_1)
	v_add_co_ci_u32_e64 v11, s1, 0, v133, s1
	s_clause 0x1
	global_load_b128 v[188:191], v[10:11], off offset:3760
	global_load_b128 v[196:199], v[44:45], off offset:192
	s_waitcnt vmcnt(1)
	v_mul_f64 v[10:11], v[26:27], v[190:191]
	v_mul_f64 v[32:33], v[24:25], v[190:191]
	s_delay_alu instid0(VALU_DEP_2) | instskip(NEXT) | instid1(VALU_DEP_2)
	v_fma_f64 v[22:23], v[24:25], v[188:189], -v[10:11]
	v_fma_f64 v[24:25], v[26:27], v[188:189], v[32:33]
	s_waitcnt lgkmcnt(0)
	v_mul_f64 v[10:11], v[178:179], v[42:43]
	v_mul_f64 v[26:27], v[176:177], v[42:43]
	s_delay_alu instid0(VALU_DEP_2) | instskip(NEXT) | instid1(VALU_DEP_2)
	v_fma_f64 v[38:39], v[176:177], v[40:41], -v[10:11]
	v_fma_f64 v[40:41], v[178:179], v[40:41], v[26:27]
	ds_load_b128 v[176:179], v255 offset:1632
	ds_load_b128 v[188:191], v255 offset:2448
	s_waitcnt lgkmcnt(1)
	v_mul_f64 v[10:11], v[178:179], v[194:195]
	v_mul_f64 v[26:27], v[176:177], v[194:195]
	s_delay_alu instid0(VALU_DEP_2) | instskip(NEXT) | instid1(VALU_DEP_2)
	v_fma_f64 v[176:177], v[176:177], v[192:193], -v[10:11]
	v_fma_f64 v[178:179], v[178:179], v[192:193], v[26:27]
	s_clause 0x1
	global_load_b128 v[192:195], v[16:17], off offset:480
	global_load_b128 v[200:203], v[16:17], off offset:1296
	ds_load_b128 v[204:207], v255 offset:5440
	ds_load_b128 v[208:211], v255 offset:6256
	s_waitcnt vmcnt(1) lgkmcnt(1)
	v_mul_f64 v[10:11], v[206:207], v[194:195]
	v_mul_f64 v[16:17], v[204:205], v[194:195]
	s_delay_alu instid0(VALU_DEP_2) | instskip(NEXT) | instid1(VALU_DEP_2)
	v_fma_f64 v[204:205], v[204:205], v[192:193], -v[10:11]
	v_fma_f64 v[206:207], v[206:207], v[192:193], v[16:17]
	ds_load_b128 v[192:195], v255 offset:9248
	ds_load_b128 v[212:215], v255 offset:10064
	s_waitcnt lgkmcnt(1)
	v_mul_f64 v[10:11], v[194:195], v[198:199]
	v_mul_f64 v[16:17], v[192:193], v[198:199]
	s_delay_alu instid0(VALU_DEP_2) | instskip(SKIP_1) | instid1(VALU_DEP_3)
	v_fma_f64 v[192:193], v[192:193], v[196:197], -v[10:11]
	v_mul_f64 v[10:11], v[190:191], v[30:31]
	v_fma_f64 v[194:195], v[194:195], v[196:197], v[16:17]
	v_mul_f64 v[16:17], v[188:189], v[30:31]
	s_delay_alu instid0(VALU_DEP_3) | instskip(SKIP_2) | instid1(VALU_DEP_3)
	v_fma_f64 v[26:27], v[188:189], v[28:29], -v[10:11]
	s_waitcnt vmcnt(0)
	v_mul_f64 v[10:11], v[210:211], v[202:203]
	v_fma_f64 v[28:29], v[190:191], v[28:29], v[16:17]
	v_mul_f64 v[16:17], v[208:209], v[202:203]
	s_delay_alu instid0(VALU_DEP_3) | instskip(SKIP_3) | instid1(VALU_DEP_4)
	v_fma_f64 v[30:31], v[208:209], v[200:201], -v[10:11]
	s_waitcnt lgkmcnt(0)
	v_mul_f64 v[10:11], v[214:215], v[14:15]
	v_mul_f64 v[14:15], v[212:213], v[14:15]
	v_fma_f64 v[32:33], v[210:211], v[200:201], v[16:17]
	s_delay_alu instid0(VALU_DEP_3) | instskip(NEXT) | instid1(VALU_DEP_3)
	v_fma_f64 v[10:11], v[212:213], v[12:13], -v[10:11]
	v_fma_f64 v[12:13], v[214:215], v[12:13], v[14:15]
	ds_store_b128 v255, v[2:5]
	ds_store_b128 v255, v[6:9] offset:816
	ds_store_b128 v255, v[18:21] offset:3808
	;; [unrolled: 1-line block ×11, first 2 shown]
	s_and_saveexec_b32 s2, vcc_lo
	s_cbranch_execz .LBB0_13
; %bb.12:
	v_add_co_u32 v4, s1, 0x1000, v0
	s_delay_alu instid0(VALU_DEP_1) | instskip(SKIP_1) | instid1(VALU_DEP_1)
	v_add_co_ci_u32_e64 v5, s1, 0, v1, s1
	v_add_co_u32 v8, s1, 0x2000, v0
	v_add_co_ci_u32_e64 v9, s1, 0, v1, s1
	s_clause 0x2
	global_load_b128 v[0:3], v[0:1], off offset:3264
	global_load_b128 v[4:7], v[4:5], off offset:2976
	;; [unrolled: 1-line block ×3, first 2 shown]
	ds_load_b128 v[12:15], v255 offset:3264
	ds_load_b128 v[16:19], v255 offset:7072
	ds_load_b128 v[20:23], v255 offset:10880
	s_waitcnt vmcnt(2) lgkmcnt(2)
	v_mul_f64 v[24:25], v[14:15], v[2:3]
	v_mul_f64 v[2:3], v[12:13], v[2:3]
	s_waitcnt vmcnt(1) lgkmcnt(1)
	v_mul_f64 v[26:27], v[18:19], v[6:7]
	v_mul_f64 v[6:7], v[16:17], v[6:7]
	;; [unrolled: 3-line block ×3, first 2 shown]
	v_fma_f64 v[10:11], v[12:13], v[0:1], -v[24:25]
	v_fma_f64 v[12:13], v[14:15], v[0:1], v[2:3]
	v_fma_f64 v[0:1], v[16:17], v[4:5], -v[26:27]
	v_fma_f64 v[2:3], v[18:19], v[4:5], v[6:7]
	;; [unrolled: 2-line block ×3, first 2 shown]
	ds_store_b128 v255, v[10:13] offset:3264
	ds_store_b128 v255, v[0:3] offset:7072
	;; [unrolled: 1-line block ×3, first 2 shown]
.LBB0_13:
	s_or_b32 exec_lo, exec_lo, s2
	s_waitcnt lgkmcnt(0)
	s_barrier
	buffer_gl0_inv
	ds_load_b128 v[200:203], v255
	ds_load_b128 v[208:211], v255 offset:816
	ds_load_b128 v[228:231], v255 offset:3808
	;; [unrolled: 1-line block ×11, first 2 shown]
	s_and_saveexec_b32 s1, vcc_lo
	s_cbranch_execz .LBB0_15
; %bb.14:
	ds_load_b128 v[180:183], v255 offset:3264
	ds_load_b128 v[184:187], v255 offset:7072
	;; [unrolled: 1-line block ×3, first 2 shown]
.LBB0_15:
	s_or_b32 exec_lo, exec_lo, s1
	s_waitcnt lgkmcnt(9)
	v_add_f64 v[0:1], v[200:201], v[228:229]
	s_waitcnt lgkmcnt(7)
	v_add_f64 v[4:5], v[228:229], v[176:177]
	v_add_f64 v[10:11], v[228:229], -v[176:177]
	s_waitcnt lgkmcnt(6)
	v_add_f64 v[12:13], v[188:189], v[224:225]
	v_add_f64 v[18:19], v[188:189], -v[224:225]
	;; [unrolled: 3-line block ×4, first 2 shown]
	v_add_f64 v[8:9], v[230:231], -v[178:179]
	s_mov_b32 s2, 0xe8584caa
	s_mov_b32 s3, 0xbfebb67a
	;; [unrolled: 1-line block ×4, first 2 shown]
	s_barrier
	buffer_gl0_inv
	v_add_f64 v[2:3], v[202:203], v[230:231]
	v_add_f64 v[6:7], v[230:231], v[178:179]
	;; [unrolled: 1-line block ×3, first 2 shown]
	v_add_f64 v[16:17], v[190:191], -v[226:227]
	v_add_f64 v[22:23], v[194:195], v[222:223]
	v_add_f64 v[24:25], v[194:195], -v[222:223]
	v_add_f64 v[30:31], v[198:199], v[206:207]
	;; [unrolled: 2-line block ×3, first 2 shown]
	v_add_f64 v[38:39], v[186:187], v[174:175]
	v_add_f64 v[40:41], v[186:187], -v[174:175]
	v_add_f64 v[42:43], v[184:185], -v[172:173]
	v_add_f64 v[176:177], v[0:1], v[176:177]
	v_add_f64 v[0:1], v[208:209], v[188:189]
	v_add_f64 v[178:179], v[2:3], v[178:179]
	v_add_f64 v[2:3], v[210:211], v[190:191]
	s_delay_alu instid0(VALU_DEP_3) | instskip(SKIP_1) | instid1(VALU_DEP_3)
	v_add_f64 v[188:189], v[0:1], v[224:225]
	v_add_f64 v[0:1], v[212:213], v[192:193]
	v_add_f64 v[190:191], v[2:3], v[226:227]
	v_add_f64 v[2:3], v[214:215], v[194:195]
	s_delay_alu instid0(VALU_DEP_3) | instskip(SKIP_1) | instid1(VALU_DEP_3)
	;; [unrolled: 5-line block ×3, first 2 shown]
	v_add_f64 v[196:197], v[0:1], v[204:205]
	v_add_f64 v[0:1], v[180:181], v[184:185]
	;; [unrolled: 1-line block ×4, first 2 shown]
	s_delay_alu instid0(VALU_DEP_3)
	v_add_f64 v[204:205], v[0:1], v[172:173]
	v_fma_f64 v[0:1], v[4:5], -0.5, v[200:201]
	v_fma_f64 v[4:5], v[12:13], -0.5, v[208:209]
	;; [unrolled: 1-line block ×5, first 2 shown]
	v_add_f64 v[206:207], v[2:3], v[174:175]
	v_fma_f64 v[2:3], v[6:7], -0.5, v[202:203]
	v_fma_f64 v[6:7], v[14:15], -0.5, v[210:211]
	;; [unrolled: 1-line block ×5, first 2 shown]
	v_fma_f64 v[212:213], v[8:9], s[2:3], v[0:1]
	v_fma_f64 v[200:201], v[8:9], s[10:11], v[0:1]
	scratch_load_b32 v0, off, off offset:240 ; 4-byte Folded Reload
	v_fma_f64 v[172:173], v[16:17], s[2:3], v[4:5]
	v_fma_f64 v[180:181], v[16:17], s[10:11], v[4:5]
	;; [unrolled: 1-line block ×18, first 2 shown]
	s_waitcnt vmcnt(0)
	ds_store_b128 v0, v[176:179]
	ds_store_b128 v0, v[212:215] offset:16
	ds_store_b128 v0, v[200:203] offset:32
	scratch_load_b32 v0, off, off offset:248 ; 4-byte Folded Reload
	s_waitcnt vmcnt(0)
	ds_store_b128 v0, v[188:191]
	ds_store_b128 v0, v[172:175] offset:16
	ds_store_b128 v0, v[180:183] offset:32
	scratch_load_b32 v0, off, off offset:232 ; 4-byte Folded Reload
	;; [unrolled: 5-line block ×3, first 2 shown]
	s_waitcnt vmcnt(0)
	ds_store_b128 v0, v[196:199]
	ds_store_b128 v0, v[220:223] offset:16
	ds_store_b128 v0, v[216:219] offset:32
	s_and_saveexec_b32 s1, vcc_lo
	s_cbranch_execz .LBB0_17
; %bb.16:
	scratch_load_b32 v0, off, off offset:208 ; 4-byte Folded Reload
	s_waitcnt vmcnt(0)
	v_lshlrev_b32_e32 v0, 4, v0
	ds_store_b128 v0, v[204:207]
	ds_store_b128 v0, v[224:227] offset:16
	ds_store_b128 v0, v[228:231] offset:32
.LBB0_17:
	s_or_b32 exec_lo, exec_lo, s1
	s_waitcnt lgkmcnt(0)
	s_barrier
	buffer_gl0_inv
	s_and_saveexec_b32 s1, s0
	s_cbranch_execz .LBB0_19
; %bb.18:
	ds_load_b128 v[176:179], v255
	ds_load_b128 v[212:215], v255 offset:672
	ds_load_b128 v[200:203], v255 offset:1344
	;; [unrolled: 1-line block ×16, first 2 shown]
.LBB0_19:
	s_or_b32 exec_lo, exec_lo, s1
	s_waitcnt lgkmcnt(0)
	s_barrier
	buffer_gl0_inv
	s_and_saveexec_b32 s33, s0
	s_cbranch_execz .LBB0_21
; %bb.20:
	scratch_load_b128 v[4:7], off, off offset:264 ; 16-byte Folded Reload
	s_mov_b32 s24, 0xeb564b22
	s_mov_b32 s42, 0x923c349f
	;; [unrolled: 1-line block ×44, first 2 shown]
	s_waitcnt vmcnt(0)
	v_mul_f64 v[0:1], v[6:7], v[214:215]
	v_mul_f64 v[2:3], v[6:7], v[212:213]
	scratch_load_b128 v[6:9], off, off offset:280 ; 16-byte Folded Reload
	v_fma_f64 v[0:1], v[4:5], v[212:213], v[0:1]
	v_fma_f64 v[2:3], v[4:5], v[214:215], -v[2:3]
	v_mul_f64 v[4:5], v[74:75], v[50:51]
	s_delay_alu instid0(VALU_DEP_1) | instskip(SKIP_1) | instid1(VALU_DEP_1)
	v_fma_f64 v[10:11], v[72:73], v[48:49], v[4:5]
	v_mul_f64 v[4:5], v[74:75], v[48:49]
	v_fma_f64 v[36:37], v[72:73], v[50:51], -v[4:5]
	v_mul_f64 v[4:5], v[58:59], v[202:203]
	s_delay_alu instid0(VALU_DEP_2) | instskip(NEXT) | instid1(VALU_DEP_2)
	v_add_f64 v[20:21], v[2:3], v[36:37]
	v_fma_f64 v[84:85], v[56:57], v[200:201], v[4:5]
	v_mul_f64 v[4:5], v[58:59], v[200:201]
	s_delay_alu instid0(VALU_DEP_1) | instskip(SKIP_1) | instid1(VALU_DEP_1)
	v_fma_f64 v[144:145], v[56:57], v[202:203], -v[4:5]
	v_mul_f64 v[4:5], v[70:71], v[166:167]
	v_fma_f64 v[72:73], v[68:69], v[164:165], v[4:5]
	v_mul_f64 v[4:5], v[70:71], v[164:165]
	s_delay_alu instid0(VALU_DEP_1) | instskip(SKIP_1) | instid1(VALU_DEP_1)
	v_fma_f64 v[74:75], v[68:69], v[166:167], -v[4:5]
	v_mul_f64 v[4:5], v[118:119], v[210:211]
	;; [unrolled: 5-line block ×3, first 2 shown]
	v_fma_f64 v[116:117], v[168:169], v[196:197], v[4:5]
	v_mul_f64 v[4:5], v[170:171], v[196:197]
	s_delay_alu instid0(VALU_DEP_2) | instskip(NEXT) | instid1(VALU_DEP_2)
	v_dual_mov_b32 v68, v116 :: v_dual_mov_b32 v69, v117
	v_fma_f64 v[70:71], v[168:169], v[198:199], -v[4:5]
	v_mul_f64 v[4:5], v[110:111], v[186:187]
	s_delay_alu instid0(VALU_DEP_1) | instskip(SKIP_1) | instid1(VALU_DEP_1)
	v_fma_f64 v[150:151], v[108:109], v[184:185], v[4:5]
	v_mul_f64 v[4:5], v[110:111], v[184:185]
	v_fma_f64 v[164:165], v[108:109], v[186:187], -v[4:5]
	v_mul_f64 v[4:5], v[126:127], v[222:223]
	s_delay_alu instid0(VALU_DEP_1) | instskip(SKIP_1) | instid1(VALU_DEP_1)
	v_fma_f64 v[108:109], v[124:125], v[220:221], v[4:5]
	v_mul_f64 v[4:5], v[126:127], v[220:221]
	;; [unrolled: 5-line block ×3, first 2 shown]
	v_fma_f64 v[166:167], v[52:53], v[194:195], -v[4:5]
	v_mul_f64 v[4:5], v[130:131], v[218:219]
	v_dual_mov_b32 v53, v11 :: v_dual_mov_b32 v52, v10
	scratch_store_b64 off, v[52:53], off offset:352 ; 8-byte Folded Spill
	v_add_f64 v[52:53], v[0:1], v[52:53]
	v_fma_f64 v[124:125], v[128:129], v[216:217], v[4:5]
	v_mul_f64 v[4:5], v[130:131], v[216:217]
	v_add_f64 v[216:217], v[164:165], -v[110:111]
	s_delay_alu instid0(VALU_DEP_3) | instskip(NEXT) | instid1(VALU_DEP_3)
	v_add_f64 v[208:209], v[126:127], -v[124:125]
	v_fma_f64 v[128:129], v[128:129], v[218:219], -v[4:5]
	v_mul_f64 v[4:5], v[82:83], v[182:183]
	s_delay_alu instid0(VALU_DEP_3) | instskip(NEXT) | instid1(VALU_DEP_3)
	v_mul_f64 v[253:254], v[208:209], s[38:39]
	v_add_f64 v[210:211], v[166:167], -v[128:129]
	s_delay_alu instid0(VALU_DEP_3) | instskip(SKIP_1) | instid1(VALU_DEP_3)
	v_fma_f64 v[130:131], v[80:81], v[180:181], v[4:5]
	v_mul_f64 v[4:5], v[82:83], v[180:181]
	v_mul_f64 v[238:239], v[210:211], s[46:47]
	;; [unrolled: 1-line block ×3, first 2 shown]
	s_delay_alu instid0(VALU_DEP_3) | instskip(SKIP_1) | instid1(VALU_DEP_1)
	v_fma_f64 v[168:169], v[80:81], v[182:183], -v[4:5]
	v_mul_f64 v[4:5], v[106:107], v[206:207]
	v_fma_f64 v[80:81], v[104:105], v[204:205], v[4:5]
	v_mul_f64 v[4:5], v[106:107], v[204:205]
	s_delay_alu instid0(VALU_DEP_2) | instskip(NEXT) | instid1(VALU_DEP_2)
	v_add_f64 v[204:205], v[130:131], -v[80:81]
	v_fma_f64 v[82:83], v[104:105], v[206:207], -v[4:5]
	v_mul_f64 v[4:5], v[66:67], v[174:175]
	s_delay_alu instid0(VALU_DEP_3) | instskip(NEXT) | instid1(VALU_DEP_3)
	v_mul_f64 v[249:250], v[204:205], s[22:23]
	v_add_f64 v[206:207], v[168:169], -v[82:83]
	s_delay_alu instid0(VALU_DEP_3) | instskip(SKIP_2) | instid1(VALU_DEP_4)
	v_fma_f64 v[106:107], v[64:65], v[172:173], v[4:5]
	v_mul_f64 v[4:5], v[66:67], v[172:173]
	v_dual_mov_b32 v66, v118 :: v_dual_mov_b32 v67, v119
	v_mul_f64 v[251:252], v[206:207], s[22:23]
	s_delay_alu instid0(VALU_DEP_3) | instskip(SKIP_1) | instid1(VALU_DEP_1)
	v_fma_f64 v[170:171], v[64:65], v[174:175], -v[4:5]
	v_mul_f64 v[4:5], v[78:79], v[226:227]
	v_fma_f64 v[64:65], v[76:77], v[224:225], v[4:5]
	v_mul_f64 v[4:5], v[78:79], v[224:225]
	s_delay_alu instid0(VALU_DEP_2) | instskip(NEXT) | instid1(VALU_DEP_2)
	v_add_f64 v[200:201], v[106:107], -v[64:65]
	v_fma_f64 v[76:77], v[76:77], v[226:227], -v[4:5]
	s_waitcnt vmcnt(0)
	v_mul_f64 v[4:5], v[8:9], v[190:191]
	s_delay_alu instid0(VALU_DEP_3) | instskip(NEXT) | instid1(VALU_DEP_3)
	v_mul_f64 v[245:246], v[200:201], s[28:29]
	v_add_f64 v[202:203], v[170:171], -v[76:77]
	s_delay_alu instid0(VALU_DEP_3) | instskip(SKIP_1) | instid1(VALU_DEP_3)
	v_fma_f64 v[172:173], v[6:7], v[188:189], v[4:5]
	v_mul_f64 v[4:5], v[8:9], v[188:189]
	v_mul_f64 v[247:248], v[202:203], s[28:29]
	s_delay_alu instid0(VALU_DEP_2)
	v_fma_f64 v[184:185], v[6:7], v[190:191], -v[4:5]
	v_mul_f64 v[4:5], v[62:63], v[230:231]
	v_add_f64 v[6:7], v[0:1], -v[10:11]
	v_add_f64 v[0:1], v[176:177], v[0:1]
	v_dual_mov_b32 v193, v159 :: v_dual_mov_b32 v192, v158
	v_dual_mov_b32 v191, v157 :: v_dual_mov_b32 v190, v156
	v_mul_f64 v[156:157], v[202:203], s[26:27]
	v_fma_f64 v[78:79], v[60:61], v[228:229], v[4:5]
	v_mul_f64 v[4:5], v[62:63], v[228:229]
	v_mul_f64 v[8:9], v[6:7], s[34:35]
	;; [unrolled: 1-line block ×7, first 2 shown]
	scratch_store_b64 off, v[0:1], off offset:384 ; 8-byte Folded Spill
	v_fma_f64 v[104:105], v[60:61], v[230:231], -v[4:5]
	v_mul_f64 v[4:5], v[6:7], s[26:27]
	v_mul_f64 v[6:7], v[6:7], s[30:31]
	v_fma_f64 v[24:25], v[20:21], s[10:11], v[8:9]
	v_fma_f64 v[8:9], v[20:21], s[10:11], -v[8:9]
	v_fma_f64 v[26:27], v[20:21], s[2:3], v[10:11]
	v_fma_f64 v[10:11], v[20:21], s[2:3], -v[10:11]
	;; [unrolled: 2-line block ×4, first 2 shown]
	v_fma_f64 v[32:33], v[20:21], s[16:17], -v[16:17]
	v_fma_f64 v[16:17], v[20:21], s[16:17], v[16:17]
	v_fma_f64 v[34:35], v[20:21], s[18:19], -v[18:19]
	v_fma_f64 v[18:19], v[20:21], s[18:19], v[18:19]
	v_fma_f64 v[22:23], v[20:21], s[12:13], v[4:5]
	v_fma_f64 v[4:5], v[20:21], s[12:13], -v[4:5]
	v_fma_f64 v[42:43], v[20:21], s[20:21], -v[6:7]
	v_fma_f64 v[6:7], v[20:21], s[20:21], v[6:7]
	v_add_f64 v[20:21], v[2:3], -v[36:37]
	v_add_f64 v[0:1], v[178:179], v[10:11]
	v_add_f64 v[2:3], v[178:179], v[2:3]
	v_add_f64 v[230:231], v[178:179], v[24:25]
	v_add_f64 v[220:221], v[178:179], v[14:15]
	v_add_f64 v[226:227], v[178:179], v[34:35]
	v_add_f64 v[22:23], v[178:179], v[22:23]
	v_mul_f64 v[40:41], v[20:21], s[22:23]
	v_mul_f64 v[44:45], v[20:21], s[42:43]
	scratch_store_b64 off, v[0:1], off offset:336 ; 8-byte Folded Spill
	v_mul_f64 v[46:47], v[20:21], s[40:41]
	v_mul_f64 v[38:39], v[20:21], s[34:35]
	;; [unrolled: 1-line block ×4, first 2 shown]
	v_fma_f64 v[62:63], v[52:53], s[2:3], -v[40:41]
	v_fma_f64 v[40:41], v[52:53], s[2:3], v[40:41]
	v_fma_f64 v[174:175], v[52:53], s[0:1], -v[44:45]
	v_fma_f64 v[44:45], v[52:53], s[0:1], v[44:45]
	;; [unrolled: 2-line block ×3, first 2 shown]
	v_fma_f64 v[196:197], v[52:53], s[18:19], v[50:51]
	v_fma_f64 v[50:51], v[52:53], s[18:19], -v[50:51]
	v_fma_f64 v[48:49], v[52:53], s[20:21], -v[48:49]
	;; [unrolled: 1-line block ×3, first 2 shown]
	v_fma_f64 v[60:61], v[52:53], s[10:11], v[38:39]
	v_fma_f64 v[46:47], v[52:53], s[14:15], v[46:47]
	v_dual_mov_b32 v38, v84 :: v_dual_mov_b32 v39, v85
	s_delay_alu instid0(VALU_DEP_1)
	v_add_f64 v[84:85], v[38:39], v[72:73]
	v_add_f64 v[0:1], v[176:177], v[40:41]
	v_mul_f64 v[40:41], v[208:209], s[30:31]
	v_add_f64 v[228:229], v[176:177], v[196:197]
	v_add_f64 v[196:197], v[172:173], -v[78:79]
	v_add_f64 v[58:59], v[176:177], v[58:59]
	v_add_f64 v[60:61], v[176:177], v[60:61]
	;; [unrolled: 1-line block ×4, first 2 shown]
	v_add_f64 v[198:199], v[184:185], -v[104:105]
	scratch_store_b64 off, v[0:1], off offset:328 ; 8-byte Folded Spill
	v_add_f64 v[0:1], v[178:179], v[28:29]
	v_mul_f64 v[243:244], v[198:199], s[34:35]
	scratch_store_b64 off, v[0:1], off offset:320 ; 8-byte Folded Spill
	v_add_f64 v[0:1], v[176:177], v[174:175]
	scratch_store_b64 off, v[0:1], off offset:312 ; 8-byte Folded Spill
	v_add_f64 v[0:1], v[178:179], v[12:13]
	scratch_store_b64 off, v[0:1], off offset:368 ; 8-byte Folded Spill
	v_add_f64 v[0:1], v[176:177], v[44:45]
	v_add_f64 v[44:45], v[178:179], v[42:43]
	scratch_store_b64 off, v[0:1], off offset:360 ; 8-byte Folded Spill
	v_add_f64 v[0:1], v[178:179], v[30:31]
	v_mul_f64 v[30:31], v[210:211], s[30:31]
	scratch_store_b64 off, v[0:1], off offset:280 ; 8-byte Folded Spill
	v_add_f64 v[0:1], v[176:177], v[180:181]
	scratch_store_b64 off, v[36:37], off offset:344 ; 8-byte Folded Spill
	v_mul_f64 v[36:37], v[20:21], s[26:27]
	v_mul_f64 v[20:21], v[20:21], s[44:45]
	scratch_store_b64 off, v[0:1], off offset:264 ; 8-byte Folded Spill
	v_add_f64 v[0:1], v[178:179], v[16:17]
	v_fma_f64 v[54:55], v[52:53], s[12:13], -v[36:37]
	v_fma_f64 v[182:183], v[52:53], s[16:17], v[20:21]
	v_fma_f64 v[20:21], v[52:53], s[16:17], -v[20:21]
	v_fma_f64 v[56:57], v[52:53], s[12:13], v[36:37]
	v_add_f64 v[36:37], v[178:179], v[32:33]
	scratch_store_b64 off, v[0:1], off offset:296 ; 8-byte Folded Spill
	v_add_f64 v[52:53], v[176:177], v[54:55]
	v_add_f64 v[54:55], v[178:179], v[4:5]
	v_add_f64 v[0:1], v[176:177], v[20:21]
	v_add_f64 v[56:57], v[176:177], v[56:57]
	v_add_f64 v[4:5], v[176:177], v[62:63]
	v_add_f64 v[224:225], v[176:177], v[182:183]
	v_dual_mov_b32 v183, v155 :: v_dual_mov_b32 v182, v154
	v_dual_mov_b32 v181, v153 :: v_dual_mov_b32 v180, v152
	v_mul_f64 v[152:153], v[198:199], s[22:23]
	scratch_store_b64 off, v[0:1], off offset:304 ; 8-byte Folded Spill
	v_add_f64 v[0:1], v[178:179], v[18:19]
	scratch_store_b64 off, v[2:3], off offset:376 ; 8-byte Folded Spill
	v_add_f64 v[2:3], v[178:179], v[26:27]
	;; [unrolled: 2-line block ×4, first 2 shown]
	scratch_store_b128 off, v[232:235], off offset:208 ; 16-byte Folded Spill
	v_add_f64 v[234:235], v[178:179], v[8:9]
	scratch_store_b64 off, v[0:1], off offset:224 ; 8-byte Folded Spill
	v_add_f64 v[0:1], v[176:177], v[48:49]
	s_clause 0x1
	scratch_store_b64 off, v[0:1], off offset:232
	scratch_store_b64 off, v[72:73], off offset:392
	v_dual_mov_b32 v0, v74 :: v_dual_mov_b32 v1, v75
	v_add_f64 v[176:177], v[38:39], -v[72:73]
	s_clause 0x1
	scratch_store_b64 off, v[0:1], off offset:400
	scratch_store_b64 off, v[144:145], off offset:456
	v_add_f64 v[178:179], v[144:145], -v[0:1]
	v_add_f64 v[74:75], v[144:145], v[0:1]
	v_mul_f64 v[0:1], v[210:211], s[38:39]
	s_clause 0x12
	scratch_store_b64 off, v[78:79], off offset:408
	scratch_store_b64 off, v[172:173], off offset:464
	;; [unrolled: 1-line block ×19, first 2 shown]
	v_mul_f64 v[144:145], v[216:217], s[38:39]
	v_mul_f64 v[62:63], v[176:177], s[36:37]
	;; [unrolled: 1-line block ×4, first 2 shown]
	s_delay_alu instid0(VALU_DEP_3) | instskip(SKIP_1) | instid1(VALU_DEP_4)
	v_fma_f64 v[6:7], v[74:75], s[20:21], v[62:63]
	v_fma_f64 v[62:63], v[74:75], s[20:21], -v[62:63]
	v_fma_f64 v[8:9], v[84:85], s[20:21], -v[241:242]
	s_delay_alu instid0(VALU_DEP_3) | instskip(NEXT) | instid1(VALU_DEP_3)
	v_add_f64 v[10:11], v[6:7], v[22:23]
	v_add_f64 v[54:55], v[62:63], v[54:55]
	v_fma_f64 v[62:63], v[84:85], s[20:21], v[241:242]
	s_delay_alu instid0(VALU_DEP_4)
	v_add_f64 v[12:13], v[8:9], v[52:53]
	v_add_f64 v[8:9], v[184:185], v[104:105]
	v_mul_f64 v[52:53], v[196:197], s[34:35]
	v_mul_f64 v[104:105], v[208:209], s[34:35]
	v_add_f64 v[56:57], v[62:63], v[56:57]
	v_mul_f64 v[62:63], v[178:179], s[38:39]
	s_delay_alu instid0(VALU_DEP_4) | instskip(SKIP_1) | instid1(VALU_DEP_2)
	v_fma_f64 v[14:15], v[8:9], s[10:11], v[52:53]
	v_fma_f64 v[52:53], v[8:9], s[10:11], -v[52:53]
	v_add_f64 v[14:15], v[14:15], v[10:11]
	v_add_f64 v[10:11], v[172:173], v[78:79]
	s_delay_alu instid0(VALU_DEP_3)
	v_add_f64 v[52:53], v[52:53], v[54:55]
	v_mul_f64 v[78:79], v[200:201], s[34:35]
	v_dual_mov_b32 v175, v139 :: v_dual_mov_b32 v174, v138
	v_dual_mov_b32 v173, v137 :: v_dual_mov_b32 v172, v136
	;; [unrolled: 1-line block ×4, first 2 shown]
	v_fma_f64 v[146:147], v[84:85], s[14:15], v[188:189]
	v_mul_f64 v[148:149], v[210:211], s[50:51]
	v_fma_f64 v[20:21], v[10:11], s[10:11], -v[243:244]
	v_fma_f64 v[54:55], v[10:11], s[10:11], v[243:244]
	v_fma_f64 v[154:155], v[10:11], s[2:3], v[152:153]
	v_add_f64 v[146:147], v[146:147], v[228:229]
	s_delay_alu instid0(VALU_DEP_4)
	v_add_f64 v[20:21], v[20:21], v[12:13]
	v_add_f64 v[12:13], v[170:171], v[76:77]
	;; [unrolled: 1-line block ×3, first 2 shown]
	v_mul_f64 v[76:77], v[198:199], s[30:31]
	v_add_f64 v[146:147], v[154:155], v[146:147]
	v_mul_f64 v[154:155], v[200:201], s[26:27]
	v_fma_f64 v[22:23], v[12:13], s[18:19], v[245:246]
	v_fma_f64 v[56:57], v[12:13], s[18:19], -v[245:246]
	s_delay_alu instid0(VALU_DEP_2) | instskip(SKIP_1) | instid1(VALU_DEP_3)
	v_add_f64 v[22:23], v[22:23], v[14:15]
	v_add_f64 v[14:15], v[106:107], v[64:65]
	;; [unrolled: 1-line block ×3, first 2 shown]
	v_dual_mov_b32 v64, v86 :: v_dual_mov_b32 v65, v87
	v_mul_f64 v[106:107], v[200:201], s[50:51]
	v_mul_f64 v[86:87], v[216:217], s[40:41]
	s_delay_alu instid0(VALU_DEP_3) | instskip(SKIP_3) | instid1(VALU_DEP_4)
	v_add_f64 v[218:219], v[64:65], -v[116:117]
	v_fma_f64 v[24:25], v[14:15], s[18:19], -v[247:248]
	v_fma_f64 v[56:57], v[14:15], s[18:19], v[247:248]
	v_fma_f64 v[158:159], v[14:15], s[12:13], v[156:157]
	v_mul_f64 v[72:73], v[218:219], s[38:39]
	v_mul_f64 v[118:119], v[218:219], s[36:37]
	v_add_f64 v[24:25], v[24:25], v[20:21]
	v_add_f64 v[20:21], v[168:169], v[82:83]
	v_dual_mov_b32 v82, v150 :: v_dual_mov_b32 v83, v151
	v_add_f64 v[54:55], v[56:57], v[54:55]
	v_add_f64 v[168:169], v[66:67], -v[70:71]
	v_add_f64 v[146:147], v[158:159], v[146:147]
	s_delay_alu instid0(VALU_DEP_4) | instskip(SKIP_3) | instid1(VALU_DEP_4)
	v_add_f64 v[214:215], v[82:83], -v[108:109]
	v_fma_f64 v[26:27], v[20:21], s[2:3], v[249:250]
	v_fma_f64 v[56:57], v[20:21], s[2:3], -v[249:250]
	v_mul_f64 v[170:171], v[168:169], s[24:25]
	v_mul_f64 v[232:233], v[214:215], s[42:43]
	s_delay_alu instid0(VALU_DEP_4) | instskip(SKIP_3) | instid1(VALU_DEP_3)
	v_add_f64 v[26:27], v[26:27], v[22:23]
	v_add_f64 v[22:23], v[130:131], v[80:81]
	;; [unrolled: 1-line block ×3, first 2 shown]
	v_mul_f64 v[80:81], v[204:205], s[28:29]
	v_fma_f64 v[28:29], v[22:23], s[2:3], -v[251:252]
	v_fma_f64 v[56:57], v[22:23], s[2:3], v[251:252]
	v_mul_f64 v[251:252], v[218:219], s[42:43]
	s_delay_alu instid0(VALU_DEP_3) | instskip(SKIP_3) | instid1(VALU_DEP_3)
	v_add_f64 v[28:29], v[28:29], v[24:25]
	v_add_f64 v[24:25], v[166:167], v[128:129]
	v_mul_f64 v[166:167], v[218:219], s[24:25]
	v_add_f64 v[54:55], v[56:57], v[54:55]
	v_fma_f64 v[32:33], v[24:25], s[16:17], v[253:254]
	v_fma_f64 v[56:57], v[24:25], s[16:17], -v[253:254]
	v_mul_f64 v[253:254], v[168:169], s[42:43]
	s_delay_alu instid0(VALU_DEP_3) | instskip(SKIP_1) | instid1(VALU_DEP_4)
	v_add_f64 v[32:33], v[32:33], v[26:27]
	v_add_f64 v[26:27], v[126:127], v[124:125]
	;; [unrolled: 1-line block ×3, first 2 shown]
	v_mul_f64 v[124:125], v[200:201], s[36:37]
	v_mul_f64 v[126:127], v[204:205], s[44:45]
	s_delay_alu instid0(VALU_DEP_4) | instskip(SKIP_1) | instid1(VALU_DEP_4)
	v_fma_f64 v[34:35], v[26:27], s[16:17], -v[0:1]
	v_fma_f64 v[0:1], v[26:27], s[16:17], v[0:1]
	v_fma_f64 v[194:195], v[12:13], s[20:21], -v[124:125]
	s_delay_alu instid0(VALU_DEP_3) | instskip(SKIP_4) | instid1(VALU_DEP_4)
	v_add_f64 v[34:35], v[34:35], v[28:29]
	v_add_f64 v[28:29], v[164:165], v[110:111]
	v_mul_f64 v[164:165], v[216:217], s[42:43]
	v_add_f64 v[0:1], v[0:1], v[54:55]
	v_mul_f64 v[110:111], v[202:203], s[34:35]
	v_fma_f64 v[42:43], v[28:29], s[0:1], v[232:233]
	v_fma_f64 v[54:55], v[28:29], s[0:1], -v[232:233]
	s_delay_alu instid0(VALU_DEP_2) | instskip(SKIP_1) | instid1(VALU_DEP_3)
	v_add_f64 v[42:43], v[42:43], v[32:33]
	v_add_f64 v[32:33], v[82:83], v[108:109]
	;; [unrolled: 1-line block ×3, first 2 shown]
	v_mul_f64 v[108:109], v[206:207], s[44:45]
	s_delay_alu instid0(VALU_DEP_3) | instskip(SKIP_3) | instid1(VALU_DEP_4)
	v_fma_f64 v[48:49], v[32:33], s[0:1], -v[164:165]
	v_fma_f64 v[54:55], v[32:33], s[0:1], v[164:165]
	v_fma_f64 v[164:165], v[84:85], s[16:17], -v[62:63]
	v_fma_f64 v[62:63], v[84:85], s[16:17], v[62:63]
	v_add_f64 v[48:49], v[48:49], v[34:35]
	v_add_f64 v[34:35], v[66:67], v[70:71]
	;; [unrolled: 1-line block ×4, first 2 shown]
	v_mul_f64 v[164:165], v[196:197], s[40:41]
	v_add_f64 v[60:61], v[62:63], v[60:61]
	v_fma_f64 v[50:51], v[34:35], s[14:15], v[166:167]
	v_fma_f64 v[54:55], v[34:35], s[14:15], -v[166:167]
	s_delay_alu instid0(VALU_DEP_4) | instskip(SKIP_1) | instid1(VALU_DEP_4)
	v_fma_f64 v[166:167], v[8:9], s[14:15], v[164:165]
	v_fma_f64 v[62:63], v[8:9], s[14:15], -v[164:165]
	v_add_f64 v[18:19], v[50:51], v[42:43]
	v_add_f64 v[42:43], v[64:65], v[116:117]
	v_mul_f64 v[116:117], v[196:197], s[50:51]
	s_delay_alu instid0(VALU_DEP_2) | instskip(SKIP_2) | instid1(VALU_DEP_4)
	v_fma_f64 v[212:213], v[42:43], s[14:15], -v[170:171]
	v_fma_f64 v[56:57], v[42:43], s[14:15], v[170:171]
	v_fma_f64 v[164:165], v[42:43], s[0:1], v[253:254]
	v_fma_f64 v[184:185], v[8:9], s[0:1], -v[116:117]
	s_delay_alu instid0(VALU_DEP_4)
	v_add_f64 v[16:17], v[212:213], v[48:49]
	scratch_store_b128 off, v[16:19], off offset:440 ; 16-byte Folded Spill
	v_add_f64 v[16:17], v[56:57], v[0:1]
	v_mul_f64 v[0:1], v[176:177], s[38:39]
	v_add_f64 v[18:19], v[54:55], v[52:53]
	v_mul_f64 v[52:53], v[178:179], s[22:23]
	s_delay_alu instid0(VALU_DEP_3)
	v_fma_f64 v[56:57], v[74:75], s[16:17], v[0:1]
	v_fma_f64 v[0:1], v[74:75], s[16:17], -v[0:1]
	scratch_store_b128 off, v[16:19], off offset:544 ; 16-byte Folded Spill
	v_fma_f64 v[50:51], v[84:85], s[2:3], v[52:53]
	v_fma_f64 v[52:53], v[84:85], s[2:3], -v[52:53]
	v_add_f64 v[56:57], v[56:57], v[230:231]
	v_add_f64 v[0:1], v[0:1], v[234:235]
	v_fma_f64 v[234:235], v[12:13], s[10:11], v[78:79]
	v_add_f64 v[50:51], v[50:51], v[224:225]
	s_delay_alu instid0(VALU_DEP_4) | instskip(SKIP_2) | instid1(VALU_DEP_2)
	v_add_f64 v[56:57], v[166:167], v[56:57]
	v_mul_f64 v[166:167], v[198:199], s[40:41]
	v_add_f64 v[0:1], v[62:63], v[0:1]
	v_fma_f64 v[170:171], v[10:11], s[14:15], -v[166:167]
	v_fma_f64 v[62:63], v[10:11], s[14:15], v[166:167]
	v_mul_f64 v[166:167], v[178:179], s[50:51]
	s_delay_alu instid0(VALU_DEP_3) | instskip(SKIP_1) | instid1(VALU_DEP_4)
	v_add_f64 v[58:59], v[170:171], v[58:59]
	v_mul_f64 v[170:171], v[200:201], s[48:49]
	v_add_f64 v[60:61], v[62:63], v[60:61]
	s_delay_alu instid0(VALU_DEP_2) | instskip(SKIP_2) | instid1(VALU_DEP_3)
	v_fma_f64 v[212:213], v[12:13], s[2:3], v[170:171]
	v_fma_f64 v[62:63], v[12:13], s[2:3], -v[170:171]
	v_fma_f64 v[170:171], v[84:85], s[0:1], -v[166:167]
	v_add_f64 v[56:57], v[212:213], v[56:57]
	v_mul_f64 v[212:213], v[202:203], s[48:49]
	s_delay_alu instid0(VALU_DEP_4) | instskip(NEXT) | instid1(VALU_DEP_4)
	v_add_f64 v[0:1], v[62:63], v[0:1]
	v_add_f64 v[170:171], v[170:171], v[4:5]
	v_dual_mov_b32 v4, v120 :: v_dual_mov_b32 v5, v121
	v_dual_mov_b32 v6, v122 :: v_dual_mov_b32 v7, v123
	;; [unrolled: 1-line block ×4, first 2 shown]
	v_mul_f64 v[100:101], v[216:217], s[48:49]
	v_fma_f64 v[230:231], v[14:15], s[2:3], -v[212:213]
	v_fma_f64 v[62:63], v[14:15], s[2:3], v[212:213]
	v_mul_f64 v[212:213], v[196:197], s[30:31]
	s_delay_alu instid0(VALU_DEP_4) | instskip(NEXT) | instid1(VALU_DEP_4)
	v_fma_f64 v[102:103], v[32:33], s[2:3], v[100:101]
	v_add_f64 v[58:59], v[230:231], v[58:59]
	v_mul_f64 v[230:231], v[204:205], s[30:31]
	v_add_f64 v[60:61], v[62:63], v[60:61]
	s_delay_alu instid0(VALU_DEP_2) | instskip(SKIP_2) | instid1(VALU_DEP_3)
	v_fma_f64 v[232:233], v[20:21], s[20:21], v[230:231]
	v_fma_f64 v[62:63], v[20:21], s[20:21], -v[230:231]
	v_fma_f64 v[230:231], v[8:9], s[20:21], v[212:213]
	v_add_f64 v[56:57], v[232:233], v[56:57]
	v_mul_f64 v[232:233], v[206:207], s[30:31]
	s_delay_alu instid0(VALU_DEP_4) | instskip(NEXT) | instid1(VALU_DEP_2)
	v_add_f64 v[0:1], v[62:63], v[0:1]
	v_fma_f64 v[241:242], v[22:23], s[20:21], -v[232:233]
	v_fma_f64 v[62:63], v[22:23], s[20:21], v[232:233]
	v_fma_f64 v[232:233], v[10:11], s[20:21], -v[76:77]
	s_delay_alu instid0(VALU_DEP_3) | instskip(SKIP_1) | instid1(VALU_DEP_4)
	v_add_f64 v[58:59], v[241:242], v[58:59]
	v_mul_f64 v[241:242], v[208:209], s[26:27]
	v_add_f64 v[60:61], v[62:63], v[60:61]
	s_delay_alu instid0(VALU_DEP_4) | instskip(NEXT) | instid1(VALU_DEP_3)
	v_add_f64 v[170:171], v[232:233], v[170:171]
	v_fma_f64 v[243:244], v[24:25], s[12:13], v[241:242]
	v_fma_f64 v[62:63], v[24:25], s[12:13], -v[241:242]
	s_delay_alu instid0(VALU_DEP_2) | instskip(SKIP_1) | instid1(VALU_DEP_3)
	v_add_f64 v[56:57], v[243:244], v[56:57]
	v_mul_f64 v[243:244], v[210:211], s[26:27]
	v_add_f64 v[0:1], v[62:63], v[0:1]
	s_delay_alu instid0(VALU_DEP_2) | instskip(SKIP_1) | instid1(VALU_DEP_2)
	v_fma_f64 v[245:246], v[26:27], s[12:13], -v[243:244]
	v_fma_f64 v[62:63], v[26:27], s[12:13], v[243:244]
	v_add_f64 v[58:59], v[245:246], v[58:59]
	v_mul_f64 v[245:246], v[214:215], s[28:29]
	s_delay_alu instid0(VALU_DEP_3) | instskip(NEXT) | instid1(VALU_DEP_2)
	v_add_f64 v[60:61], v[62:63], v[60:61]
	v_fma_f64 v[247:248], v[28:29], s[18:19], v[245:246]
	v_fma_f64 v[62:63], v[28:29], s[18:19], -v[245:246]
	s_delay_alu instid0(VALU_DEP_2) | instskip(SKIP_1) | instid1(VALU_DEP_3)
	v_add_f64 v[56:57], v[247:248], v[56:57]
	v_mul_f64 v[247:248], v[216:217], s[28:29]
	v_add_f64 v[0:1], v[62:63], v[0:1]
	s_delay_alu instid0(VALU_DEP_2) | instskip(SKIP_1) | instid1(VALU_DEP_2)
	v_fma_f64 v[249:250], v[32:33], s[18:19], -v[247:248]
	v_fma_f64 v[62:63], v[32:33], s[18:19], v[247:248]
	v_add_f64 v[249:250], v[249:250], v[58:59]
	v_fma_f64 v[58:59], v[34:35], s[0:1], v[251:252]
	s_delay_alu instid0(VALU_DEP_3) | instskip(SKIP_2) | instid1(VALU_DEP_4)
	v_add_f64 v[60:61], v[62:63], v[60:61]
	v_fma_f64 v[62:63], v[34:35], s[0:1], -v[251:252]
	v_mul_f64 v[251:252], v[206:207], s[24:25]
	v_add_f64 v[18:19], v[58:59], v[56:57]
	v_fma_f64 v[56:57], v[42:43], s[0:1], -v[253:254]
	v_mul_f64 v[253:254], v[208:209], s[46:47]
	s_delay_alu instid0(VALU_DEP_2)
	v_add_f64 v[16:17], v[56:57], v[249:250]
	v_mul_f64 v[249:250], v[204:205], s[24:25]
	v_mul_f64 v[56:57], v[214:215], s[26:27]
	scratch_store_b128 off, v[16:19], off offset:600 ; 16-byte Folded Spill
	v_add_f64 v[16:17], v[164:165], v[60:61]
	v_mul_f64 v[60:61], v[176:177], s[50:51]
	v_add_f64 v[18:19], v[62:63], v[0:1]
	v_mul_f64 v[62:63], v[214:215], s[40:41]
	s_delay_alu instid0(VALU_DEP_3) | instskip(SKIP_1) | instid1(VALU_DEP_2)
	v_fma_f64 v[164:165], v[74:75], s[0:1], v[60:61]
	v_fma_f64 v[60:61], v[74:75], s[0:1], -v[60:61]
	v_add_f64 v[164:165], v[164:165], v[2:3]
	s_delay_alu instid0(VALU_DEP_1) | instskip(SKIP_3) | instid1(VALU_DEP_4)
	v_add_f64 v[164:165], v[230:231], v[164:165]
	v_dual_mov_b32 v233, v143 :: v_dual_mov_b32 v232, v142
	v_dual_mov_b32 v231, v141 :: v_dual_mov_b32 v230, v140
	v_mul_f64 v[140:141], v[216:217], s[26:27]
	v_add_f64 v[164:165], v[234:235], v[164:165]
	v_fma_f64 v[234:235], v[14:15], s[10:11], -v[110:111]
	s_delay_alu instid0(VALU_DEP_1) | instskip(SKIP_1) | instid1(VALU_DEP_1)
	v_add_f64 v[170:171], v[234:235], v[170:171]
	v_fma_f64 v[234:235], v[20:21], s[14:15], v[249:250]
	v_add_f64 v[164:165], v[234:235], v[164:165]
	v_fma_f64 v[234:235], v[22:23], s[14:15], -v[251:252]
	s_delay_alu instid0(VALU_DEP_1) | instskip(SKIP_1) | instid1(VALU_DEP_1)
	v_add_f64 v[170:171], v[234:235], v[170:171]
	v_fma_f64 v[234:235], v[24:25], s[18:19], v[253:254]
	v_add_f64 v[164:165], v[234:235], v[164:165]
	v_fma_f64 v[234:235], v[26:27], s[18:19], -v[238:239]
	s_delay_alu instid0(VALU_DEP_1) | instskip(SKIP_2) | instid1(VALU_DEP_2)
	v_add_f64 v[170:171], v[234:235], v[170:171]
	v_fma_f64 v[234:235], v[28:29], s[12:13], v[56:57]
	v_fma_f64 v[56:57], v[28:29], s[12:13], -v[56:57]
	v_add_f64 v[164:165], v[234:235], v[164:165]
	v_fma_f64 v[234:235], v[32:33], s[12:13], -v[140:141]
	s_delay_alu instid0(VALU_DEP_1) | instskip(SKIP_1) | instid1(VALU_DEP_1)
	v_add_f64 v[170:171], v[234:235], v[170:171]
	v_fma_f64 v[234:235], v[34:35], s[16:17], v[72:73]
	v_add_f64 v[2:3], v[234:235], v[164:165]
	v_mul_f64 v[164:165], v[168:169], s[38:39]
	s_delay_alu instid0(VALU_DEP_1) | instskip(NEXT) | instid1(VALU_DEP_1)
	v_fma_f64 v[234:235], v[42:43], s[16:17], -v[164:165]
	v_add_f64 v[0:1], v[234:235], v[170:171]
	scratch_store_b128 off, v[16:19], off offset:616 ; 16-byte Folded Spill
	v_mul_f64 v[234:235], v[176:177], s[40:41]
	v_mul_f64 v[170:171], v[196:197], s[22:23]
	v_mul_f64 v[18:19], v[178:179], s[26:27]
	v_mul_f64 v[16:17], v[214:215], s[48:49]
	scratch_store_b128 off, v[0:3], off offset:632 ; 16-byte Folded Spill
	v_mul_f64 v[0:1], v[176:177], s[46:47]
	v_fma_f64 v[245:246], v[74:75], s[14:15], -v[234:235]
	v_fma_f64 v[150:151], v[8:9], s[2:3], -v[170:171]
	v_fma_f64 v[186:187], v[84:85], s[12:13], v[18:19]
	scratch_store_b64 off, v[0:1], off offset:648 ; 8-byte Folded Spill
	v_fma_f64 v[241:242], v[74:75], s[18:19], -v[0:1]
	v_mul_f64 v[0:1], v[178:179], s[46:47]
	v_add_f64 v[226:227], v[245:246], v[226:227]
	v_add_f64 v[186:187], v[186:187], v[222:223]
	s_delay_alu instid0(VALU_DEP_4)
	v_add_f64 v[44:45], v[241:242], v[44:45]
	scratch_store_b64 off, v[0:1], off offset:656 ; 8-byte Folded Spill
	v_fma_f64 v[241:242], v[84:85], s[18:19], v[0:1]
	v_mul_f64 v[0:1], v[196:197], s[44:45]
	v_add_f64 v[150:151], v[150:151], v[226:227]
	v_fma_f64 v[226:227], v[12:13], s[12:13], -v[154:155]
	s_delay_alu instid0(VALU_DEP_4) | instskip(SKIP_4) | instid1(VALU_DEP_3)
	v_add_f64 v[46:47], v[241:242], v[46:47]
	scratch_store_b64 off, v[0:1], off offset:664 ; 8-byte Folded Spill
	v_fma_f64 v[241:242], v[8:9], s[16:17], -v[0:1]
	v_mul_f64 v[0:1], v[198:199], s[44:45]
	v_add_f64 v[150:151], v[226:227], v[150:151]
	v_add_f64 v[44:45], v[241:242], v[44:45]
	scratch_store_b64 off, v[0:1], off offset:672 ; 8-byte Folded Spill
	v_fma_f64 v[241:242], v[10:11], s[16:17], v[0:1]
	v_mul_f64 v[0:1], v[200:201], s[40:41]
	s_delay_alu instid0(VALU_DEP_2) | instskip(SKIP_3) | instid1(VALU_DEP_2)
	v_add_f64 v[46:47], v[241:242], v[46:47]
	scratch_store_b64 off, v[0:1], off offset:680 ; 8-byte Folded Spill
	v_fma_f64 v[241:242], v[12:13], s[14:15], -v[0:1]
	v_mul_f64 v[0:1], v[202:203], s[40:41]
	v_add_f64 v[44:45], v[241:242], v[44:45]
	scratch_store_b64 off, v[0:1], off offset:688 ; 8-byte Folded Spill
	v_fma_f64 v[241:242], v[14:15], s[14:15], v[0:1]
	v_mul_f64 v[0:1], v[204:205], s[42:43]
	s_delay_alu instid0(VALU_DEP_2)
	v_add_f64 v[46:47], v[241:242], v[46:47]
	scratch_store_b64 off, v[0:1], off offset:696 ; 8-byte Folded Spill
	v_fma_f64 v[241:242], v[20:21], s[0:1], -v[0:1]
	v_mul_f64 v[0:1], v[206:207], s[42:43]
	s_mov_b32 s43, 0x3fe0d888
	s_mov_b32 s42, s34
	s_delay_alu instid0(SALU_CYCLE_1) | instskip(NEXT) | instid1(VALU_DEP_3)
	v_mul_f64 v[158:159], v[204:205], s[42:43]
	v_add_f64 v[44:45], v[241:242], v[44:45]
	scratch_store_b64 off, v[0:1], off offset:704 ; 8-byte Folded Spill
	v_fma_f64 v[241:242], v[22:23], s[0:1], v[0:1]
	v_mul_f64 v[0:1], v[208:209], s[22:23]
	v_fma_f64 v[226:227], v[20:21], s[10:11], -v[158:159]
	s_delay_alu instid0(VALU_DEP_3) | instskip(SKIP_4) | instid1(VALU_DEP_3)
	v_add_f64 v[46:47], v[241:242], v[46:47]
	scratch_store_b64 off, v[0:1], off offset:712 ; 8-byte Folded Spill
	v_fma_f64 v[241:242], v[24:25], s[2:3], -v[0:1]
	v_mul_f64 v[0:1], v[210:211], s[22:23]
	v_add_f64 v[150:151], v[226:227], v[150:151]
	v_add_f64 v[44:45], v[241:242], v[44:45]
	s_delay_alu instid0(VALU_DEP_3)
	v_fma_f64 v[130:131], v[26:27], s[2:3], v[0:1]
	scratch_store_b64 off, v[0:1], off offset:720 ; 8-byte Folded Spill
	v_mul_f64 v[0:1], v[214:215], s[34:35]
	v_add_f64 v[46:47], v[130:131], v[46:47]
	v_dual_mov_b32 v128, v160 :: v_dual_mov_b32 v129, v161
	v_dual_mov_b32 v130, v162 :: v_dual_mov_b32 v131, v163
	v_mul_f64 v[160:161], v[206:207], s[42:43]
	scratch_store_b64 off, v[0:1], off offset:728 ; 8-byte Folded Spill
	v_fma_f64 v[241:242], v[28:29], s[10:11], -v[0:1]
	v_mul_f64 v[0:1], v[216:217], s[34:35]
	v_fma_f64 v[162:163], v[22:23], s[10:11], v[160:161]
	s_delay_alu instid0(VALU_DEP_3) | instskip(NEXT) | instid1(VALU_DEP_3)
	v_add_f64 v[44:45], v[241:242], v[44:45]
	v_fma_f64 v[142:143], v[32:33], s[10:11], v[0:1]
	scratch_store_b64 off, v[0:1], off offset:736 ; 8-byte Folded Spill
	v_mul_f64 v[0:1], v[218:219], s[26:27]
	v_add_f64 v[146:147], v[162:163], v[146:147]
	v_mul_f64 v[162:163], v[208:209], s[50:51]
	v_add_f64 v[46:47], v[142:143], v[46:47]
	v_mul_f64 v[142:143], v[214:215], s[38:39]
	s_mov_b32 s39, 0x3fc7851a
	s_mov_b32 s38, s26
	scratch_store_b64 off, v[0:1], off offset:744 ; 8-byte Folded Spill
	v_fma_f64 v[241:242], v[34:35], s[12:13], -v[0:1]
	v_mul_f64 v[0:1], v[168:169], s[26:27]
	v_mul_f64 v[224:225], v[196:197], s[38:39]
	;; [unrolled: 1-line block ×3, first 2 shown]
	v_fma_f64 v[226:227], v[24:25], s[0:1], -v[162:163]
	v_add_f64 v[243:244], v[241:242], v[44:45]
	v_fma_f64 v[241:242], v[42:43], s[12:13], v[0:1]
	v_mul_f64 v[44:45], v[206:207], s[28:29]
	v_fma_f64 v[54:55], v[10:11], s[12:13], v[48:49]
	scratch_store_b64 off, v[0:1], off offset:752 ; 8-byte Folded Spill
	v_dual_mov_b32 v0, v112 :: v_dual_mov_b32 v1, v113
	v_dual_mov_b32 v2, v114 :: v_dual_mov_b32 v3, v115
	;; [unrolled: 1-line block ×8, first 2 shown]
	v_mul_f64 v[88:89], v[168:169], s[28:29]
	v_fma_f64 v[48:49], v[10:11], s[12:13], -v[48:49]
	v_add_f64 v[150:151], v[226:227], v[150:151]
	v_fma_f64 v[226:227], v[26:27], s[0:1], v[148:149]
	v_add_f64 v[241:242], v[241:242], v[46:47]
	v_mul_f64 v[46:47], v[202:203], s[50:51]
	v_add_f64 v[50:51], v[54:55], v[50:51]
	v_mul_f64 v[54:55], v[168:169], s[34:35]
	v_add_f64 v[146:147], v[226:227], v[146:147]
	v_fma_f64 v[226:227], v[28:29], s[16:17], -v[142:143]
	v_fma_f64 v[58:59], v[14:15], s[0:1], v[46:47]
	v_fma_f64 v[46:47], v[14:15], s[0:1], -v[46:47]
	s_delay_alu instid0(VALU_DEP_3) | instskip(SKIP_1) | instid1(VALU_DEP_4)
	v_add_f64 v[150:151], v[226:227], v[150:151]
	v_fma_f64 v[226:227], v[32:33], s[16:17], v[144:145]
	v_add_f64 v[50:51], v[58:59], v[50:51]
	v_mul_f64 v[58:59], v[218:219], s[34:35]
	s_delay_alu instid0(VALU_DEP_3) | instskip(SKIP_1) | instid1(VALU_DEP_1)
	v_add_f64 v[146:147], v[226:227], v[146:147]
	v_fma_f64 v[226:227], v[34:35], s[20:21], -v[118:119]
	v_add_f64 v[228:229], v[226:227], v[150:151]
	v_mul_f64 v[150:151], v[168:169], s[36:37]
	v_mul_f64 v[168:169], v[168:169], s[22:23]
	s_delay_alu instid0(VALU_DEP_2) | instskip(NEXT) | instid1(VALU_DEP_1)
	v_fma_f64 v[226:227], v[42:43], s[20:21], v[150:151]
	v_add_f64 v[226:227], v[226:227], v[146:147]
	v_mul_f64 v[146:147], v[176:177], s[22:23]
	s_delay_alu instid0(VALU_DEP_1) | instskip(NEXT) | instid1(VALU_DEP_1)
	v_fma_f64 v[245:246], v[74:75], s[2:3], -v[146:147]
	v_add_f64 v[36:37], v[245:246], v[36:37]
	v_fma_f64 v[245:246], v[8:9], s[12:13], -v[224:225]
	s_delay_alu instid0(VALU_DEP_1) | instskip(SKIP_1) | instid1(VALU_DEP_1)
	v_add_f64 v[36:37], v[245:246], v[36:37]
	v_fma_f64 v[245:246], v[12:13], s[0:1], -v[106:107]
	v_add_f64 v[36:37], v[245:246], v[36:37]
	v_fma_f64 v[245:246], v[20:21], s[18:19], -v[80:81]
	s_delay_alu instid0(VALU_DEP_1) | instskip(SKIP_2) | instid1(VALU_DEP_2)
	v_add_f64 v[36:37], v[245:246], v[36:37]
	v_fma_f64 v[245:246], v[22:23], s[18:19], v[44:45]
	v_fma_f64 v[44:45], v[22:23], s[18:19], -v[44:45]
	v_add_f64 v[50:51], v[245:246], v[50:51]
	v_fma_f64 v[245:246], v[24:25], s[20:21], -v[40:41]
	v_fma_f64 v[40:41], v[24:25], s[20:21], v[40:41]
	s_delay_alu instid0(VALU_DEP_2) | instskip(SKIP_2) | instid1(VALU_DEP_2)
	v_add_f64 v[36:37], v[245:246], v[36:37]
	v_fma_f64 v[245:246], v[26:27], s[20:21], v[30:31]
	v_fma_f64 v[30:31], v[26:27], s[20:21], -v[30:31]
	v_add_f64 v[50:51], v[245:246], v[50:51]
	v_fma_f64 v[245:246], v[28:29], s[14:15], -v[62:63]
	s_delay_alu instid0(VALU_DEP_1) | instskip(SKIP_1) | instid1(VALU_DEP_1)
	v_add_f64 v[36:37], v[245:246], v[36:37]
	v_fma_f64 v[245:246], v[32:33], s[14:15], v[86:87]
	v_add_f64 v[50:51], v[245:246], v[50:51]
	v_fma_f64 v[245:246], v[34:35], s[10:11], -v[58:59]
	s_delay_alu instid0(VALU_DEP_1) | instskip(SKIP_1) | instid1(VALU_DEP_1)
	v_add_f64 v[247:248], v[245:246], v[36:37]
	v_fma_f64 v[36:37], v[42:43], s[10:11], v[54:55]
	v_add_f64 v[245:246], v[36:37], v[50:51]
	v_mul_f64 v[50:51], v[176:177], s[26:27]
	s_delay_alu instid0(VALU_DEP_1) | instskip(SKIP_1) | instid1(VALU_DEP_2)
	v_fma_f64 v[36:37], v[74:75], s[12:13], -v[50:51]
	v_fma_f64 v[50:51], v[74:75], s[12:13], v[50:51]
	v_add_f64 v[36:37], v[36:37], v[220:221]
	s_delay_alu instid0(VALU_DEP_1) | instskip(SKIP_1) | instid1(VALU_DEP_2)
	v_add_f64 v[36:37], v[184:185], v[36:37]
	v_mul_f64 v[184:185], v[198:199], s[50:51]
	v_add_f64 v[36:37], v[194:195], v[36:37]
	s_delay_alu instid0(VALU_DEP_2) | instskip(SKIP_1) | instid1(VALU_DEP_2)
	v_fma_f64 v[220:221], v[10:11], s[0:1], v[184:185]
	v_mul_f64 v[194:195], v[202:203], s[36:37]
	v_add_f64 v[186:187], v[220:221], v[186:187]
	s_delay_alu instid0(VALU_DEP_2) | instskip(NEXT) | instid1(VALU_DEP_1)
	v_fma_f64 v[220:221], v[14:15], s[20:21], v[194:195]
	v_add_f64 v[186:187], v[220:221], v[186:187]
	v_fma_f64 v[220:221], v[20:21], s[16:17], -v[126:127]
	s_delay_alu instid0(VALU_DEP_1) | instskip(SKIP_1) | instid1(VALU_DEP_1)
	v_add_f64 v[36:37], v[220:221], v[36:37]
	v_fma_f64 v[220:221], v[22:23], s[16:17], v[108:109]
	v_add_f64 v[186:187], v[220:221], v[186:187]
	v_fma_f64 v[220:221], v[24:25], s[10:11], -v[104:105]
	s_delay_alu instid0(VALU_DEP_1) | instskip(SKIP_1) | instid1(VALU_DEP_1)
	v_add_f64 v[36:37], v[220:221], v[36:37]
	v_fma_f64 v[220:221], v[26:27], s[10:11], v[236:237]
	v_add_f64 v[186:187], v[220:221], v[186:187]
	v_fma_f64 v[220:221], v[28:29], s[2:3], -v[16:17]
	s_delay_alu instid0(VALU_DEP_2) | instskip(SKIP_1) | instid1(VALU_DEP_3)
	v_add_f64 v[102:103], v[102:103], v[186:187]
	v_mul_f64 v[186:187], v[218:219], s[28:29]
	v_add_f64 v[36:37], v[220:221], v[36:37]
	s_delay_alu instid0(VALU_DEP_2) | instskip(NEXT) | instid1(VALU_DEP_1)
	v_fma_f64 v[220:221], v[34:35], s[18:19], -v[186:187]
	v_add_f64 v[222:223], v[220:221], v[36:37]
	v_fma_f64 v[36:37], v[42:43], s[18:19], v[88:89]
	s_delay_alu instid0(VALU_DEP_1)
	v_add_f64 v[220:221], v[36:37], v[102:103]
	s_clause 0x1
	scratch_load_b64 v[36:37], off, off offset:376
	scratch_load_b64 v[90:91], off, off offset:456
	v_mul_f64 v[102:103], v[178:179], s[42:43]
	v_mul_f64 v[178:179], v[198:199], s[28:29]
	;; [unrolled: 1-line block ×6, first 2 shown]
	s_waitcnt vmcnt(0)
	v_add_f64 v[36:37], v[36:37], v[90:91]
	scratch_load_b64 v[90:91], off, off offset:384 ; 8-byte Folded Reload
	s_waitcnt vmcnt(0)
	v_add_f64 v[38:39], v[90:91], v[38:39]
	scratch_load_b64 v[90:91], off, off offset:472 ; 8-byte Folded Reload
	;; [unrolled: 3-line block ×10, first 2 shown]
	v_add_f64 v[38:39], v[38:39], v[82:83]
	s_delay_alu instid0(VALU_DEP_1)
	v_add_f64 v[38:39], v[38:39], v[64:65]
	scratch_load_b64 v[64:65], off, off offset:584 ; 8-byte Folded Reload
	v_add_f64 v[38:39], v[38:39], v[68:69]
	scratch_load_b64 v[68:69], off, off offset:360 ; 8-byte Folded Reload
	s_waitcnt vmcnt(2)
	v_add_f64 v[36:37], v[36:37], v[90:91]
	v_mul_f64 v[90:91], v[176:177], s[42:43]
	v_mul_f64 v[176:177], v[196:197], s[28:29]
	;; [unrolled: 1-line block ×7, first 2 shown]
	v_add_f64 v[36:37], v[36:37], v[66:67]
	scratch_load_b64 v[66:67], off, off offset:368 ; 8-byte Folded Reload
	v_add_f64 v[36:37], v[36:37], v[70:71]
	scratch_load_b64 v[70:71], off, off offset:328 ; 8-byte Folded Reload
	s_waitcnt vmcnt(3)
	v_add_f64 v[36:37], v[36:37], v[64:65]
	scratch_load_b64 v[64:65], off, off offset:576 ; 8-byte Folded Reload
	s_waitcnt vmcnt(0)
	;; [unrolled: 3-line block ×14, first 2 shown]
	v_add_f64 v[36:37], v[64:65], v[36:37]
	v_fma_f64 v[64:65], v[74:75], s[10:11], -v[90:91]
	s_delay_alu instid0(VALU_DEP_1) | instskip(SKIP_1) | instid1(VALU_DEP_1)
	v_add_f64 v[64:65], v[64:65], v[66:67]
	v_fma_f64 v[66:67], v[84:85], s[10:11], v[102:103]
	v_add_f64 v[66:67], v[66:67], v[68:69]
	v_fma_f64 v[68:69], v[8:9], s[18:19], -v[176:177]
	s_delay_alu instid0(VALU_DEP_1) | instskip(SKIP_1) | instid1(VALU_DEP_1)
	v_add_f64 v[64:65], v[68:69], v[64:65]
	v_fma_f64 v[68:69], v[10:11], s[18:19], v[178:179]
	;; [unrolled: 5-line block ×7, first 2 shown]
	v_add_f64 v[64:65], v[64:65], v[68:69]
	scratch_load_b64 v[68:69], off, off offset:336 ; 8-byte Folded Reload
	s_waitcnt vmcnt(0)
	v_add_f64 v[60:61], v[60:61], v[68:69]
	v_fma_f64 v[68:69], v[84:85], s[0:1], v[166:167]
	s_delay_alu instid0(VALU_DEP_1) | instskip(SKIP_1) | instid1(VALU_DEP_1)
	v_add_f64 v[68:69], v[68:69], v[70:71]
	v_fma_f64 v[70:71], v[8:9], s[20:21], -v[212:213]
	v_add_f64 v[60:61], v[70:71], v[60:61]
	v_fma_f64 v[70:71], v[10:11], s[20:21], v[76:77]
	v_fma_f64 v[76:77], v[42:43], s[2:3], -v[168:169]
	s_delay_alu instid0(VALU_DEP_2) | instskip(SKIP_1) | instid1(VALU_DEP_1)
	v_add_f64 v[68:69], v[70:71], v[68:69]
	v_fma_f64 v[70:71], v[12:13], s[10:11], -v[78:79]
	v_add_f64 v[60:61], v[70:71], v[60:61]
	v_fma_f64 v[70:71], v[14:15], s[10:11], v[110:111]
	s_delay_alu instid0(VALU_DEP_1) | instskip(SKIP_1) | instid1(VALU_DEP_1)
	v_add_f64 v[68:69], v[70:71], v[68:69]
	v_fma_f64 v[70:71], v[20:21], s[14:15], -v[249:250]
	v_add_f64 v[60:61], v[70:71], v[60:61]
	v_fma_f64 v[70:71], v[22:23], s[14:15], v[251:252]
	s_delay_alu instid0(VALU_DEP_1) | instskip(SKIP_1) | instid1(VALU_DEP_1)
	v_add_f64 v[68:69], v[70:71], v[68:69]
	v_fma_f64 v[70:71], v[24:25], s[18:19], -v[253:254]
	v_add_f64 v[60:61], v[70:71], v[60:61]
	v_fma_f64 v[70:71], v[26:27], s[18:19], v[238:239]
	s_delay_alu instid0(VALU_DEP_2) | instskip(NEXT) | instid1(VALU_DEP_2)
	v_add_f64 v[56:57], v[56:57], v[60:61]
	v_add_f64 v[68:69], v[70:71], v[68:69]
	v_fma_f64 v[60:61], v[32:33], s[12:13], v[140:141]
	s_delay_alu instid0(VALU_DEP_1) | instskip(SKIP_2) | instid1(VALU_DEP_2)
	v_add_f64 v[60:61], v[60:61], v[68:69]
	v_fma_f64 v[68:69], v[34:35], s[16:17], -v[72:73]
	v_fma_f64 v[72:73], v[42:43], s[16:17], v[164:165]
	v_add_f64 v[70:71], v[68:69], v[56:57]
	s_delay_alu instid0(VALU_DEP_2)
	v_add_f64 v[68:69], v[72:73], v[60:61]
	s_clause 0x1
	scratch_load_b64 v[60:61], off, off offset:320
	scratch_load_b64 v[72:73], off, off offset:312
	v_fma_f64 v[56:57], v[74:75], s[10:11], v[90:91]
	s_waitcnt vmcnt(1)
	s_delay_alu instid0(VALU_DEP_1) | instskip(SKIP_2) | instid1(VALU_DEP_1)
	v_add_f64 v[56:57], v[56:57], v[60:61]
	v_fma_f64 v[60:61], v[84:85], s[10:11], -v[102:103]
	s_waitcnt vmcnt(0)
	v_add_f64 v[60:61], v[60:61], v[72:73]
	v_fma_f64 v[72:73], v[8:9], s[18:19], v[176:177]
	s_delay_alu instid0(VALU_DEP_1) | instskip(SKIP_1) | instid1(VALU_DEP_1)
	v_add_f64 v[56:57], v[72:73], v[56:57]
	v_fma_f64 v[72:73], v[10:11], s[18:19], -v[178:179]
	v_add_f64 v[60:61], v[72:73], v[60:61]
	v_fma_f64 v[72:73], v[12:13], s[16:17], v[196:197]
	s_delay_alu instid0(VALU_DEP_1) | instskip(SKIP_1) | instid1(VALU_DEP_1)
	v_add_f64 v[56:57], v[72:73], v[56:57]
	v_fma_f64 v[72:73], v[14:15], s[16:17], -v[198:199]
	;; [unrolled: 5-line block ×5, first 2 shown]
	v_add_f64 v[60:61], v[72:73], v[60:61]
	v_fma_f64 v[72:73], v[34:35], s[2:3], v[214:215]
	s_delay_alu instid0(VALU_DEP_2) | instskip(NEXT) | instid1(VALU_DEP_2)
	v_add_f64 v[164:165], v[76:77], v[60:61]
	v_add_f64 v[166:167], v[72:73], v[56:57]
	scratch_load_b64 v[56:57], off, off offset:280 ; 8-byte Folded Reload
	v_fma_f64 v[76:77], v[42:43], s[18:19], -v[88:89]
	v_dual_mov_b32 v88, v92 :: v_dual_mov_b32 v89, v93
	v_dual_mov_b32 v90, v94 :: v_dual_mov_b32 v91, v95
	;; [unrolled: 1-line block ×8, first 2 shown]
	v_fma_f64 v[60:61], v[10:11], s[0:1], -v[184:185]
	v_fma_f64 v[2:3], v[34:35], s[10:11], v[58:59]
	scratch_load_b64 v[0:1], off, off offset:296 ; 8-byte Folded Reload
	s_waitcnt vmcnt(1)
	v_add_f64 v[50:51], v[50:51], v[56:57]
	v_fma_f64 v[56:57], v[8:9], s[0:1], v[116:117]
	s_delay_alu instid0(VALU_DEP_1) | instskip(SKIP_1) | instid1(VALU_DEP_1)
	v_add_f64 v[50:51], v[56:57], v[50:51]
	v_fma_f64 v[56:57], v[12:13], s[20:21], v[124:125]
	v_add_f64 v[50:51], v[56:57], v[50:51]
	v_fma_f64 v[56:57], v[20:21], s[16:17], v[126:127]
	s_delay_alu instid0(VALU_DEP_1) | instskip(SKIP_1) | instid1(VALU_DEP_1)
	v_add_f64 v[50:51], v[56:57], v[50:51]
	v_fma_f64 v[56:57], v[24:25], s[10:11], v[104:105]
	v_add_f64 v[50:51], v[56:57], v[50:51]
	v_fma_f64 v[56:57], v[84:85], s[12:13], -v[18:19]
	scratch_load_b64 v[18:19], off, off offset:264 ; 8-byte Folded Reload
	s_waitcnt vmcnt(0)
	v_add_f64 v[56:57], v[56:57], v[18:19]
	v_fma_f64 v[18:19], v[28:29], s[14:15], v[62:63]
	s_delay_alu instid0(VALU_DEP_2) | instskip(SKIP_1) | instid1(VALU_DEP_1)
	v_add_f64 v[56:57], v[60:61], v[56:57]
	v_fma_f64 v[60:61], v[14:15], s[20:21], -v[194:195]
	v_add_f64 v[56:57], v[60:61], v[56:57]
	v_fma_f64 v[60:61], v[22:23], s[16:17], -v[108:109]
	s_delay_alu instid0(VALU_DEP_1) | instskip(SKIP_1) | instid1(VALU_DEP_1)
	v_add_f64 v[56:57], v[60:61], v[56:57]
	v_fma_f64 v[60:61], v[26:27], s[10:11], -v[236:237]
	v_add_f64 v[56:57], v[60:61], v[56:57]
	v_fma_f64 v[60:61], v[28:29], s[2:3], v[16:17]
	v_fma_f64 v[16:17], v[32:33], s[14:15], -v[86:87]
	s_delay_alu instid0(VALU_DEP_2)
	v_add_f64 v[50:51], v[60:61], v[50:51]
	v_fma_f64 v[60:61], v[32:33], s[2:3], -v[100:101]
	v_dual_mov_b32 v100, v120 :: v_dual_mov_b32 v101, v121
	v_dual_mov_b32 v102, v122 :: v_dual_mov_b32 v103, v123
	;; [unrolled: 1-line block ×4, first 2 shown]
	s_clause 0x1
	scratch_load_b64 v[4:5], off, off offset:248
	scratch_load_b64 v[6:7], off, off offset:224
	v_add_f64 v[56:57], v[60:61], v[56:57]
	v_fma_f64 v[60:61], v[34:35], s[18:19], v[186:187]
	s_delay_alu instid0(VALU_DEP_2) | instskip(NEXT) | instid1(VALU_DEP_2)
	v_add_f64 v[76:77], v[76:77], v[56:57]
	v_add_f64 v[78:79], v[60:61], v[50:51]
	v_fma_f64 v[50:51], v[74:75], s[2:3], v[146:147]
	v_fma_f64 v[56:57], v[8:9], s[12:13], v[224:225]
	s_delay_alu instid0(VALU_DEP_2)
	v_add_f64 v[50:51], v[50:51], v[0:1]
	scratch_load_b64 v[0:1], off, off offset:304 ; 8-byte Folded Reload
	v_add_f64 v[50:51], v[56:57], v[50:51]
	s_waitcnt vmcnt(0)
	v_add_f64 v[52:53], v[52:53], v[0:1]
	v_fma_f64 v[0:1], v[42:43], s[10:11], -v[54:55]
	s_delay_alu instid0(VALU_DEP_2) | instskip(SKIP_1) | instid1(VALU_DEP_2)
	v_add_f64 v[48:49], v[48:49], v[52:53]
	v_fma_f64 v[52:53], v[12:13], s[0:1], v[106:107]
	v_add_f64 v[46:47], v[46:47], v[48:49]
	s_delay_alu instid0(VALU_DEP_2) | instskip(SKIP_1) | instid1(VALU_DEP_3)
	v_add_f64 v[50:51], v[52:53], v[50:51]
	v_fma_f64 v[48:49], v[20:21], s[18:19], v[80:81]
	v_add_f64 v[44:45], v[44:45], v[46:47]
	s_delay_alu instid0(VALU_DEP_2) | instskip(NEXT) | instid1(VALU_DEP_2)
	v_add_f64 v[48:49], v[48:49], v[50:51]
	v_add_f64 v[30:31], v[30:31], v[44:45]
	s_delay_alu instid0(VALU_DEP_2) | instskip(NEXT) | instid1(VALU_DEP_2)
	v_add_f64 v[40:41], v[40:41], v[48:49]
	v_add_f64 v[16:17], v[16:17], v[30:31]
	v_fma_f64 v[30:31], v[42:43], s[20:21], -v[150:151]
	s_delay_alu instid0(VALU_DEP_3) | instskip(NEXT) | instid1(VALU_DEP_3)
	v_add_f64 v[18:19], v[18:19], v[40:41]
	v_add_f64 v[80:81], v[0:1], v[16:17]
	v_fma_f64 v[0:1], v[74:75], s[14:15], v[234:235]
	s_delay_alu instid0(VALU_DEP_3)
	v_add_f64 v[82:83], v[2:3], v[18:19]
	scratch_load_b64 v[2:3], off, off offset:240 ; 8-byte Folded Reload
	v_fma_f64 v[16:17], v[8:9], s[2:3], v[170:171]
	s_waitcnt vmcnt(0)
	v_add_f64 v[0:1], v[0:1], v[2:3]
	v_fma_f64 v[2:3], v[84:85], s[14:15], -v[188:189]
	s_delay_alu instid0(VALU_DEP_2) | instskip(NEXT) | instid1(VALU_DEP_2)
	v_add_f64 v[0:1], v[16:17], v[0:1]
	v_add_f64 v[2:3], v[2:3], v[4:5]
	v_fma_f64 v[16:17], v[10:11], s[2:3], -v[152:153]
	scratch_load_b64 v[4:5], off, off offset:664 ; 8-byte Folded Reload
	v_add_f64 v[2:3], v[16:17], v[2:3]
	v_fma_f64 v[16:17], v[12:13], s[12:13], v[154:155]
	v_dual_mov_b32 v152, v180 :: v_dual_mov_b32 v153, v181
	v_dual_mov_b32 v154, v182 :: v_dual_mov_b32 v155, v183
	s_delay_alu instid0(VALU_DEP_3) | instskip(SKIP_1) | instid1(VALU_DEP_1)
	v_add_f64 v[0:1], v[16:17], v[0:1]
	v_fma_f64 v[16:17], v[14:15], s[12:13], -v[156:157]
	v_add_f64 v[2:3], v[16:17], v[2:3]
	v_fma_f64 v[16:17], v[20:21], s[10:11], v[158:159]
	v_dual_mov_b32 v156, v190 :: v_dual_mov_b32 v157, v191
	v_dual_mov_b32 v158, v192 :: v_dual_mov_b32 v159, v193
	s_delay_alu instid0(VALU_DEP_3) | instskip(SKIP_1) | instid1(VALU_DEP_1)
	v_add_f64 v[0:1], v[16:17], v[0:1]
	v_fma_f64 v[16:17], v[22:23], s[10:11], -v[160:161]
	v_add_f64 v[2:3], v[16:17], v[2:3]
	v_fma_f64 v[16:17], v[24:25], s[0:1], v[162:163]
	v_dual_mov_b32 v163, v131 :: v_dual_mov_b32 v162, v130
	v_dual_mov_b32 v161, v129 :: v_dual_mov_b32 v160, v128
	s_delay_alu instid0(VALU_DEP_3)
	v_add_f64 v[0:1], v[16:17], v[0:1]
	v_fma_f64 v[16:17], v[26:27], s[0:1], -v[148:149]
	v_dual_mov_b32 v149, v139 :: v_dual_mov_b32 v148, v138
	v_dual_mov_b32 v147, v137 :: v_dual_mov_b32 v146, v136
	;; [unrolled: 1-line block ×4, first 2 shown]
	v_add_f64 v[2:3], v[16:17], v[2:3]
	v_fma_f64 v[16:17], v[28:29], s[16:17], v[142:143]
	v_dual_mov_b32 v140, v230 :: v_dual_mov_b32 v141, v231
	v_dual_mov_b32 v142, v232 :: v_dual_mov_b32 v143, v233
	scratch_load_b128 v[232:235], off, off offset:208 ; 16-byte Folded Reload
	v_add_f64 v[0:1], v[16:17], v[0:1]
	v_fma_f64 v[16:17], v[32:33], s[16:17], -v[144:145]
	s_waitcnt vmcnt(1)
	v_fma_f64 v[4:5], v[8:9], s[16:17], v[4:5]
	s_delay_alu instid0(VALU_DEP_2) | instskip(SKIP_1) | instid1(VALU_DEP_1)
	v_add_f64 v[2:3], v[16:17], v[2:3]
	v_fma_f64 v[16:17], v[34:35], s[20:21], v[118:119]
	v_add_f64 v[18:19], v[16:17], v[0:1]
	s_delay_alu instid0(VALU_DEP_3)
	v_add_f64 v[16:17], v[30:31], v[2:3]
	s_clause 0x2
	scratch_load_b64 v[0:1], off, off offset:648
	scratch_load_b64 v[2:3], off, off offset:656
	;; [unrolled: 1-line block ×3, first 2 shown]
	s_waitcnt vmcnt(2)
	v_fma_f64 v[0:1], v[74:75], s[18:19], v[0:1]
	s_waitcnt vmcnt(1)
	v_fma_f64 v[2:3], v[84:85], s[18:19], -v[2:3]
	s_delay_alu instid0(VALU_DEP_2)
	v_add_f64 v[0:1], v[0:1], v[6:7]
	scratch_load_b64 v[6:7], off, off offset:672 ; 8-byte Folded Reload
	s_waitcnt vmcnt(1)
	v_add_f64 v[2:3], v[2:3], v[8:9]
	scratch_load_b64 v[8:9], off, off offset:680 ; 8-byte Folded Reload
	v_add_f64 v[0:1], v[4:5], v[0:1]
	scratch_load_b64 v[4:5], off, off offset:688 ; 8-byte Folded Reload
	s_waitcnt vmcnt(2)
	v_fma_f64 v[6:7], v[10:11], s[16:17], -v[6:7]
	s_waitcnt vmcnt(1)
	v_fma_f64 v[8:9], v[12:13], s[14:15], v[8:9]
	s_delay_alu instid0(VALU_DEP_2)
	v_add_f64 v[2:3], v[6:7], v[2:3]
	scratch_load_b64 v[6:7], off, off offset:696 ; 8-byte Folded Reload
	s_waitcnt vmcnt(1)
	v_fma_f64 v[4:5], v[14:15], s[14:15], -v[4:5]
	v_add_f64 v[0:1], v[8:9], v[0:1]
	scratch_load_b64 v[8:9], off, off offset:704 ; 8-byte Folded Reload
	v_add_f64 v[2:3], v[4:5], v[2:3]
	scratch_load_b64 v[4:5], off, off offset:712 ; 8-byte Folded Reload
	s_waitcnt vmcnt(2)
	v_fma_f64 v[6:7], v[20:21], s[0:1], v[6:7]
	s_waitcnt vmcnt(1)
	v_fma_f64 v[8:9], v[22:23], s[0:1], -v[8:9]
	s_delay_alu instid0(VALU_DEP_2)
	v_add_f64 v[0:1], v[6:7], v[0:1]
	scratch_load_b64 v[6:7], off, off offset:720 ; 8-byte Folded Reload
	s_waitcnt vmcnt(1)
	v_fma_f64 v[4:5], v[24:25], s[2:3], v[4:5]
	v_add_f64 v[2:3], v[8:9], v[2:3]
	scratch_load_b64 v[8:9], off, off offset:728 ; 8-byte Folded Reload
	v_add_f64 v[0:1], v[4:5], v[0:1]
	scratch_load_b64 v[4:5], off, off offset:736 ; 8-byte Folded Reload
	s_waitcnt vmcnt(2)
	v_fma_f64 v[6:7], v[26:27], s[2:3], -v[6:7]
	s_waitcnt vmcnt(1)
	v_fma_f64 v[8:9], v[28:29], s[10:11], v[8:9]
	s_delay_alu instid0(VALU_DEP_2)
	v_add_f64 v[2:3], v[6:7], v[2:3]
	scratch_load_b64 v[6:7], off, off offset:744 ; 8-byte Folded Reload
	s_waitcnt vmcnt(1)
	v_fma_f64 v[4:5], v[32:33], s[10:11], -v[4:5]
	v_add_f64 v[0:1], v[8:9], v[0:1]
	scratch_load_b64 v[8:9], off, off offset:752 ; 8-byte Folded Reload
	v_add_f64 v[4:5], v[4:5], v[2:3]
	s_waitcnt vmcnt(1)
	v_fma_f64 v[6:7], v[34:35], s[12:13], v[6:7]
	s_waitcnt vmcnt(0)
	v_fma_f64 v[8:9], v[42:43], s[12:13], -v[8:9]
	s_delay_alu instid0(VALU_DEP_2) | instskip(NEXT) | instid1(VALU_DEP_2)
	v_add_f64 v[2:3], v[6:7], v[0:1]
	v_add_f64 v[0:1], v[8:9], v[4:5]
	s_clause 0x1
	scratch_load_b32 v4, off, off offset:200
	scratch_load_b32 v5, off, off offset:204
	s_waitcnt vmcnt(1)
	v_and_b32_e32 v4, 0xffff, v4
	s_delay_alu instid0(VALU_DEP_1) | instskip(SKIP_1) | instid1(VALU_DEP_1)
	v_mul_u32_u24_e32 v4, 51, v4
	s_waitcnt vmcnt(0)
	v_add_lshl_u32 v4, v4, v5, 4
	ds_store_b128 v4, v[36:39]
	ds_store_b128 v4, v[241:244] offset:48
	ds_store_b128 v4, v[226:229] offset:96
	;; [unrolled: 1-line block ×6, first 2 shown]
	scratch_load_b128 v[5:8], off, off offset:616 ; 16-byte Folded Reload
	s_waitcnt vmcnt(0)
	ds_store_b128 v4, v[5:8] offset:336
	scratch_load_b128 v[5:8], off, off offset:544 ; 16-byte Folded Reload
	s_waitcnt vmcnt(0)
	ds_store_b128 v4, v[5:8] offset:384
	;; [unrolled: 3-line block ×5, first 2 shown]
	ds_store_b128 v4, v[164:167] offset:576
	ds_store_b128 v4, v[76:79] offset:624
	;; [unrolled: 1-line block ×5, first 2 shown]
.LBB0_21:
	s_or_b32 exec_lo, exec_lo, s33
	s_waitcnt lgkmcnt(0)
	s_waitcnt_vscnt null, 0x0
	s_barrier
	buffer_gl0_inv
	ds_load_b128 v[0:3], v255 offset:1632
	ds_load_b128 v[4:7], v255 offset:3264
	;; [unrolled: 1-line block ×12, first 2 shown]
	s_mov_b32 s0, 0x37e14327
	s_mov_b32 s2, 0x36b3c0b5
	;; [unrolled: 1-line block ×9, first 2 shown]
	s_waitcnt lgkmcnt(11)
	v_mul_f64 v[44:45], v[94:95], v[2:3]
	v_mul_f64 v[46:47], v[94:95], v[0:1]
	s_waitcnt lgkmcnt(10)
	v_mul_f64 v[52:53], v[90:91], v[6:7]
	v_mul_f64 v[54:55], v[90:91], v[4:5]
	;; [unrolled: 3-line block ×9, first 2 shown]
	v_mul_f64 v[84:85], v[122:123], v[34:35]
	v_mul_f64 v[86:87], v[122:123], v[32:33]
	s_mov_b32 s16, 0xb247c609
	s_mov_b32 s15, 0xbff2aaaa
	;; [unrolled: 1-line block ×5, first 2 shown]
	v_fma_f64 v[0:1], v[92:93], v[0:1], v[44:45]
	v_fma_f64 v[2:3], v[92:93], v[2:3], -v[46:47]
	v_fma_f64 v[4:5], v[88:89], v[4:5], v[52:53]
	v_fma_f64 v[6:7], v[88:89], v[6:7], -v[54:55]
	;; [unrolled: 2-line block ×4, first 2 shown]
	s_waitcnt lgkmcnt(1)
	v_mul_f64 v[44:45], v[114:115], v[42:43]
	v_mul_f64 v[46:47], v[114:115], v[40:41]
	s_waitcnt lgkmcnt(0)
	v_mul_f64 v[52:53], v[122:123], v[50:51]
	v_mul_f64 v[54:55], v[122:123], v[48:49]
	v_fma_f64 v[16:17], v[92:93], v[16:17], v[64:65]
	v_fma_f64 v[18:19], v[92:93], v[18:19], -v[66:67]
	v_fma_f64 v[20:21], v[88:89], v[20:21], v[68:69]
	v_fma_f64 v[22:23], v[88:89], v[22:23], -v[70:71]
	;; [unrolled: 2-line block ×6, first 2 shown]
	v_add_f64 v[56:57], v[0:1], v[8:9]
	v_add_f64 v[58:59], v[2:3], v[10:11]
	;; [unrolled: 1-line block ×4, first 2 shown]
	v_fma_f64 v[40:41], v[112:113], v[40:41], v[44:45]
	v_fma_f64 v[42:43], v[112:113], v[42:43], -v[46:47]
	v_fma_f64 v[44:45], v[120:121], v[48:49], v[52:53]
	v_fma_f64 v[46:47], v[120:121], v[50:51], -v[54:55]
	v_add_f64 v[12:13], v[4:5], -v[12:13]
	v_add_f64 v[14:15], v[6:7], -v[14:15]
	;; [unrolled: 1-line block ×4, first 2 shown]
	v_add_f64 v[48:49], v[16:17], v[24:25]
	v_add_f64 v[50:51], v[18:19], v[26:27]
	;; [unrolled: 1-line block ×4, first 2 shown]
	v_add_f64 v[20:21], v[20:21], -v[28:29]
	v_add_f64 v[22:23], v[22:23], -v[30:31]
	v_add_f64 v[64:65], v[36:37], v[32:33]
	v_add_f64 v[66:67], v[38:39], v[34:35]
	v_add_f64 v[32:33], v[32:33], -v[36:37]
	v_add_f64 v[34:35], v[34:35], -v[38:39]
	;; [unrolled: 1-line block ×4, first 2 shown]
	ds_load_b128 v[0:3], v255
	ds_load_b128 v[4:7], v255 offset:816
	s_waitcnt lgkmcnt(0)
	s_barrier
	buffer_gl0_inv
	v_add_f64 v[36:37], v[60:61], v[56:57]
	v_add_f64 v[38:39], v[62:63], v[58:59]
	;; [unrolled: 1-line block ×4, first 2 shown]
	v_add_f64 v[40:41], v[44:45], -v[40:41]
	v_add_f64 v[42:43], v[46:47], -v[42:43]
	;; [unrolled: 1-line block ×4, first 2 shown]
	v_add_f64 v[24:25], v[52:53], v[48:49]
	v_add_f64 v[26:27], v[54:55], v[50:51]
	v_add_f64 v[44:45], v[56:57], -v[64:65]
	v_add_f64 v[46:47], v[58:59], -v[66:67]
	;; [unrolled: 1-line block ×10, first 2 shown]
	v_add_f64 v[12:13], v[32:33], v[12:13]
	v_add_f64 v[14:15], v[34:35], v[14:15]
	v_add_f64 v[32:33], v[8:9], -v[32:33]
	v_add_f64 v[34:35], v[10:11], -v[34:35]
	v_add_f64 v[36:37], v[64:65], v[36:37]
	v_add_f64 v[38:39], v[66:67], v[38:39]
	v_add_f64 v[64:65], v[48:49], -v[28:29]
	v_add_f64 v[66:67], v[50:51], -v[30:31]
	;; [unrolled: 1-line block ×4, first 2 shown]
	v_add_f64 v[20:21], v[40:41], v[20:21]
	v_add_f64 v[22:23], v[42:43], v[22:23]
	v_mul_f64 v[88:89], v[76:77], s[12:13]
	v_mul_f64 v[90:91], v[78:79], s[12:13]
	v_add_f64 v[24:25], v[28:29], v[24:25]
	v_add_f64 v[26:27], v[30:31], v[26:27]
	v_add_f64 v[28:29], v[28:29], -v[52:53]
	v_add_f64 v[30:31], v[30:31], -v[54:55]
	v_mul_f64 v[44:45], v[44:45], s[0:1]
	v_mul_f64 v[46:47], v[46:47], s[0:1]
	;; [unrolled: 1-line block ×6, first 2 shown]
	v_add_f64 v[40:41], v[16:17], -v[40:41]
	v_add_f64 v[42:43], v[18:19], -v[42:43]
	v_mul_f64 v[92:93], v[84:85], s[12:13]
	v_mul_f64 v[94:95], v[86:87], s[12:13]
	v_add_f64 v[48:49], v[52:53], -v[48:49]
	v_add_f64 v[50:51], v[54:55], -v[50:51]
	v_add_f64 v[8:9], v[12:13], v[8:9]
	v_add_f64 v[10:11], v[14:15], v[10:11]
	v_add_f64 v[0:1], v[0:1], v[36:37]
	v_add_f64 v[2:3], v[2:3], v[38:39]
	v_mul_f64 v[64:65], v[64:65], s[0:1]
	v_mul_f64 v[66:67], v[66:67], s[0:1]
	;; [unrolled: 1-line block ×4, first 2 shown]
	s_mov_b32 s0, 0x5476071b
	s_mov_b32 s1, 0x3fe77f67
	;; [unrolled: 1-line block ×4, first 2 shown]
	v_add_f64 v[4:5], v[4:5], v[24:25]
	v_add_f64 v[6:7], v[6:7], v[26:27]
	v_mul_f64 v[52:53], v[28:29], s[2:3]
	v_mul_f64 v[54:55], v[30:31], s[2:3]
	v_add_f64 v[12:13], v[20:21], v[16:17]
	v_add_f64 v[14:15], v[22:23], v[18:19]
	v_fma_f64 v[16:17], v[68:69], s[2:3], v[44:45]
	v_fma_f64 v[18:19], v[70:71], s[2:3], v[46:47]
	v_fma_f64 v[20:21], v[56:57], s[0:1], -v[60:61]
	v_fma_f64 v[22:23], v[58:59], s[0:1], -v[62:63]
	v_fma_f64 v[60:61], v[32:33], s[16:17], v[72:73]
	v_fma_f64 v[62:63], v[34:35], s[16:17], v[74:75]
	v_fma_f64 v[68:69], v[76:77], s[12:13], -v[72:73]
	v_fma_f64 v[70:71], v[78:79], s[12:13], -v[74:75]
	;; [unrolled: 1-line block ×6, first 2 shown]
	v_fma_f64 v[36:37], v[36:37], s[14:15], v[0:1]
	v_fma_f64 v[38:39], v[38:39], s[14:15], v[2:3]
	;; [unrolled: 1-line block ×6, first 2 shown]
	v_fma_f64 v[72:73], v[84:85], s[12:13], -v[80:81]
	v_fma_f64 v[74:75], v[86:87], s[12:13], -v[82:83]
	;; [unrolled: 1-line block ×4, first 2 shown]
	v_fma_f64 v[24:25], v[24:25], s[14:15], v[4:5]
	v_fma_f64 v[26:27], v[26:27], s[14:15], v[6:7]
	v_fma_f64 v[64:65], v[48:49], s[10:11], -v[64:65]
	v_fma_f64 v[66:67], v[50:51], s[10:11], -v[66:67]
	;; [unrolled: 1-line block ×4, first 2 shown]
	s_mov_b32 s0, 0x37c3f68c
	s_mov_b32 s1, 0xbfdc38aa
	s_mul_hi_u32 s3, s4, 0xee
	s_mul_i32 s2, s4, 0xee
	v_fma_f64 v[52:53], v[8:9], s[0:1], v[60:61]
	v_fma_f64 v[54:55], v[10:11], s[0:1], v[62:63]
	;; [unrolled: 1-line block ×6, first 2 shown]
	v_add_f64 v[68:69], v[16:17], v[36:37]
	v_add_f64 v[70:71], v[18:19], v[38:39]
	v_add_f64 v[44:45], v[44:45], v[36:37]
	v_add_f64 v[46:47], v[46:47], v[38:39]
	v_add_f64 v[20:21], v[20:21], v[36:37]
	v_add_f64 v[22:23], v[22:23], v[38:39]
	v_fma_f64 v[76:77], v[12:13], s[0:1], v[56:57]
	v_fma_f64 v[56:57], v[14:15], s[0:1], v[58:59]
	;; [unrolled: 1-line block ×6, first 2 shown]
	v_add_f64 v[80:81], v[28:29], v[24:25]
	v_add_f64 v[82:83], v[30:31], v[26:27]
	v_add_f64 v[64:65], v[64:65], v[24:25]
	v_add_f64 v[66:67], v[66:67], v[26:27]
	v_add_f64 v[48:49], v[48:49], v[24:25]
	v_add_f64 v[50:51], v[50:51], v[26:27]
	s_mul_i32 s0, s5, 0xee
	s_mul_i32 s1, s5, 0xfffffe57
	s_add_i32 s3, s3, s0
	s_delay_alu instid0(SALU_CYCLE_1)
	s_lshl_b64 s[2:3], s[2:3], 4
	v_add_f64 v[8:9], v[54:55], v[68:69]
	v_add_f64 v[10:11], v[70:71], -v[52:53]
	v_add_f64 v[12:13], v[34:35], v[44:45]
	v_add_f64 v[14:15], v[46:47], -v[32:33]
	v_add_f64 v[16:17], v[20:21], -v[62:63]
	v_add_f64 v[18:19], v[60:61], v[22:23]
	v_add_f64 v[20:21], v[62:63], v[20:21]
	v_add_f64 v[22:23], v[22:23], -v[60:61]
	v_add_f64 v[24:25], v[44:45], -v[34:35]
	v_add_f64 v[26:27], v[32:33], v[46:47]
	v_add_f64 v[28:29], v[68:69], -v[54:55]
	v_add_f64 v[30:31], v[52:53], v[70:71]
	v_add_f64 v[32:33], v[56:57], v[80:81]
	v_add_f64 v[34:35], v[82:83], -v[76:77]
	v_add_f64 v[36:37], v[78:79], v[64:65]
	v_add_f64 v[38:39], v[66:67], -v[74:75]
	v_add_f64 v[40:41], v[48:49], -v[72:73]
	v_add_f64 v[42:43], v[58:59], v[50:51]
	v_add_f64 v[48:49], v[72:73], v[48:49]
	v_add_f64 v[50:51], v[50:51], -v[58:59]
	v_add_f64 v[52:53], v[64:65], -v[78:79]
	v_add_f64 v[54:55], v[74:75], v[66:67]
	v_add_f64 v[56:57], v[80:81], -v[56:57]
	v_add_f64 v[58:59], v[76:77], v[82:83]
	ds_store_b128 v255, v[0:3]
	ds_store_b128 v255, v[8:11] offset:816
	ds_store_b128 v255, v[12:15] offset:1632
	;; [unrolled: 1-line block ×13, first 2 shown]
	s_waitcnt lgkmcnt(0)
	s_barrier
	buffer_gl0_inv
	ds_load_b128 v[0:3], v255 offset:5712
	ds_load_b128 v[4:7], v255 offset:6528
	;; [unrolled: 1-line block ×8, first 2 shown]
	s_waitcnt lgkmcnt(7)
	v_mul_f64 v[32:33], v[138:139], v[2:3]
	s_waitcnt lgkmcnt(6)
	v_mul_f64 v[36:37], v[154:155], v[6:7]
	;; [unrolled: 2-line block ×4, first 2 shown]
	v_mul_f64 v[34:35], v[138:139], v[0:1]
	v_mul_f64 v[38:39], v[154:155], v[4:5]
	;; [unrolled: 1-line block ×4, first 2 shown]
	s_waitcnt lgkmcnt(3)
	v_mul_f64 v[48:49], v[162:163], v[18:19]
	v_mul_f64 v[50:51], v[162:163], v[16:17]
	s_waitcnt lgkmcnt(2)
	v_mul_f64 v[52:53], v[158:159], v[22:23]
	v_mul_f64 v[54:55], v[158:159], v[20:21]
	s_waitcnt lgkmcnt(1)
	v_mul_f64 v[56:57], v[234:235], v[26:27]
	v_mul_f64 v[58:59], v[234:235], v[24:25]
	v_fma_f64 v[32:33], v[136:137], v[0:1], v[32:33]
	v_fma_f64 v[36:37], v[152:153], v[4:5], v[36:37]
	;; [unrolled: 1-line block ×4, first 2 shown]
	v_fma_f64 v[34:35], v[136:137], v[2:3], -v[34:35]
	v_fma_f64 v[38:39], v[152:153], v[6:7], -v[38:39]
	;; [unrolled: 1-line block ×4, first 2 shown]
	v_fma_f64 v[48:49], v[160:161], v[16:17], v[48:49]
	v_fma_f64 v[50:51], v[160:161], v[18:19], -v[50:51]
	v_fma_f64 v[52:53], v[156:157], v[20:21], v[52:53]
	v_fma_f64 v[54:55], v[156:157], v[22:23], -v[54:55]
	ds_load_b128 v[0:3], v255
	ds_load_b128 v[4:7], v255 offset:816
	ds_load_b128 v[8:11], v255 offset:1632
	;; [unrolled: 1-line block ×5, first 2 shown]
	v_fma_f64 v[56:57], v[232:233], v[24:25], v[56:57]
	v_fma_f64 v[58:59], v[232:233], v[26:27], -v[58:59]
	s_waitcnt lgkmcnt(5)
	v_add_f64 v[24:25], v[0:1], -v[32:33]
	s_waitcnt lgkmcnt(4)
	v_add_f64 v[32:33], v[4:5], -v[36:37]
	;; [unrolled: 2-line block ×4, first 2 shown]
	scratch_load_b64 v[44:45], off, off offset:48 ; 8-byte Folded Reload
	v_add_f64 v[26:27], v[2:3], -v[34:35]
	v_add_f64 v[34:35], v[6:7], -v[38:39]
	;; [unrolled: 1-line block ×4, first 2 shown]
	s_waitcnt lgkmcnt(1)
	v_add_f64 v[48:49], v[16:17], -v[48:49]
	v_add_f64 v[50:51], v[18:19], -v[50:51]
	s_waitcnt lgkmcnt(0)
	v_add_f64 v[52:53], v[20:21], -v[52:53]
	v_add_f64 v[54:55], v[22:23], -v[54:55]
	;; [unrolled: 1-line block ×4, first 2 shown]
	v_mad_u64_u32 v[46:47], null, s4, v240, 0
	v_fma_f64 v[0:1], v[0:1], 2.0, -v[24:25]
	v_fma_f64 v[4:5], v[4:5], 2.0, -v[32:33]
	;; [unrolled: 1-line block ×14, first 2 shown]
	ds_store_b128 v255, v[32:35] offset:6528
	ds_store_b128 v255, v[36:39] offset:7344
	;; [unrolled: 1-line block ×6, first 2 shown]
	ds_store_b128 v255, v[0:3]
	ds_store_b128 v255, v[4:7] offset:816
	ds_store_b128 v255, v[8:11] offset:1632
	;; [unrolled: 1-line block ×7, first 2 shown]
	s_waitcnt vmcnt(0) lgkmcnt(0)
	s_barrier
	buffer_gl0_inv
	ds_load_b128 v[0:3], v255
	ds_load_b128 v[12:15], v255 offset:816
	ds_load_b128 v[4:7], v255 offset:3808
	;; [unrolled: 1-line block ×7, first 2 shown]
	v_mov_b32_e32 v62, v44
	s_delay_alu instid0(VALU_DEP_1) | instskip(SKIP_1) | instid1(VALU_DEP_1)
	v_mad_u64_u32 v[44:45], null, s6, v62, 0
	s_mul_i32 s6, s4, 0xfffffe57
	v_mad_u64_u32 v[60:61], null, s7, v62, v[45:46]
	v_mov_b32_e32 v45, v47
	s_mul_hi_u32 s7, s4, 0xfffffe57
	s_delay_alu instid0(SALU_CYCLE_1) | instskip(NEXT) | instid1(VALU_DEP_1)
	s_sub_i32 s4, s7, s4
	v_mad_u64_u32 v[61:62], null, s5, v240, v[45:46]
	s_delay_alu instid0(VALU_DEP_3)
	v_mov_b32_e32 v45, v60
	s_add_i32 s7, s4, s1
	s_mov_b32 s4, 0x16f26017
	s_lshl_b64 s[6:7], s[6:7], 4
	s_mov_b32 s5, 0x3f56f260
	v_lshlrev_b64 v[32:33], 4, v[44:45]
	s_delay_alu instid0(VALU_DEP_3) | instskip(NEXT) | instid1(VALU_DEP_2)
	v_mov_b32_e32 v47, v61
	v_add_co_u32 v98, s0, s8, v32
	s_delay_alu instid0(VALU_DEP_1)
	v_add_co_ci_u32_e64 v99, s0, s9, v33, s0
	ds_load_b128 v[32:35], v255 offset:9248
	ds_load_b128 v[36:39], v255 offset:2448
	;; [unrolled: 1-line block ×4, first 2 shown]
	s_clause 0x3
	scratch_load_b128 v[108:111], off, off offset:16
	scratch_load_b128 v[104:107], off, off
	scratch_load_b128 v[128:131], off, off offset:136
	scratch_load_b128 v[136:139], off, off offset:152
	v_lshlrev_b64 v[44:45], 4, v[46:47]
	s_clause 0x1
	scratch_load_b128 v[124:127], off, off offset:120
	scratch_load_b128 v[118:121], off, off offset:88
	v_add_co_u32 v98, s0, v98, v44
	s_delay_alu instid0(VALU_DEP_1) | instskip(NEXT) | instid1(VALU_DEP_2)
	v_add_co_ci_u32_e64 v99, s0, v99, v45, s0
	v_add_co_u32 v100, s0, v98, s2
	s_delay_alu instid0(VALU_DEP_1) | instskip(NEXT) | instid1(VALU_DEP_2)
	v_add_co_ci_u32_e64 v101, s0, s3, v99, s0
	v_add_co_u32 v102, s0, v100, s2
	s_delay_alu instid0(VALU_DEP_1)
	v_add_co_ci_u32_e64 v103, s0, s3, v101, s0
	s_waitcnt vmcnt(5) lgkmcnt(11)
	v_mul_f64 v[46:47], v[110:111], v[2:3]
	v_mul_f64 v[52:53], v[110:111], v[0:1]
	scratch_load_b128 v[110:113], off, off offset:32 ; 16-byte Folded Reload
	s_waitcnt vmcnt(3) lgkmcnt(6)
	v_mul_f64 v[70:71], v[138:139], v[22:23]
	v_mul_f64 v[72:73], v[138:139], v[20:21]
	scratch_load_b128 v[138:141], off, off offset:168 ; 16-byte Folded Reload
	v_mul_f64 v[54:55], v[106:107], v[6:7]
	v_mul_f64 v[56:57], v[106:107], v[4:5]
	;; [unrolled: 1-line block ×4, first 2 shown]
	s_waitcnt vmcnt(2) lgkmcnt(4)
	v_mul_f64 v[78:79], v[120:121], v[30:31]
	v_mul_f64 v[80:81], v[120:121], v[28:29]
	scratch_load_b128 v[120:123], off, off offset:104 ; 16-byte Folded Reload
	v_fma_f64 v[0:1], v[108:109], v[0:1], v[46:47]
	v_fma_f64 v[44:45], v[108:109], v[2:3], -v[52:53]
	v_fma_f64 v[46:47], v[104:105], v[4:5], v[54:55]
	v_fma_f64 v[52:53], v[104:105], v[6:7], -v[56:57]
	;; [unrolled: 2-line block ×3, first 2 shown]
	v_mul_f64 v[2:3], v[0:1], s[4:5]
	v_mul_f64 v[4:5], v[44:45], s[4:5]
	;; [unrolled: 1-line block ×5, first 2 shown]
	s_waitcnt vmcnt(2)
	v_mul_f64 v[62:63], v[112:113], v[14:15]
	v_mul_f64 v[64:65], v[112:113], v[12:13]
	scratch_load_b128 v[112:115], off, off offset:56 ; 16-byte Folded Reload
	s_waitcnt vmcnt(2) lgkmcnt(1)
	v_mul_f64 v[90:91], v[140:141], v[42:43]
	v_mul_f64 v[92:93], v[140:141], v[40:41]
	scratch_load_b128 v[140:143], off, off offset:184 ; 16-byte Folded Reload
	s_waitcnt vmcnt(2)
	v_mul_f64 v[82:83], v[122:123], v[34:35]
	v_mul_f64 v[84:85], v[122:123], v[32:33]
	v_fma_f64 v[58:59], v[110:111], v[12:13], v[62:63]
	v_fma_f64 v[60:61], v[110:111], v[14:15], -v[64:65]
	v_mul_f64 v[12:13], v[56:57], s[4:5]
	s_delay_alu instid0(VALU_DEP_3)
	v_mul_f64 v[14:15], v[58:59], s[4:5]
	s_waitcnt vmcnt(1)
	v_mul_f64 v[74:75], v[114:115], v[26:27]
	v_mul_f64 v[76:77], v[114:115], v[24:25]
	scratch_load_b128 v[114:117], off, off offset:72 ; 16-byte Folded Reload
	v_mul_f64 v[66:67], v[126:127], v[18:19]
	v_mul_f64 v[68:69], v[126:127], v[16:17]
	s_waitcnt vmcnt(1) lgkmcnt(0)
	v_mul_f64 v[94:95], v[142:143], v[50:51]
	v_mul_f64 v[96:97], v[142:143], v[48:49]
	s_delay_alu instid0(VALU_DEP_4) | instskip(NEXT) | instid1(VALU_DEP_4)
	v_fma_f64 v[62:63], v[124:125], v[16:17], v[66:67]
	v_fma_f64 v[64:65], v[124:125], v[18:19], -v[68:69]
	v_fma_f64 v[66:67], v[136:137], v[20:21], v[70:71]
	v_fma_f64 v[68:69], v[136:137], v[22:23], -v[72:73]
	;; [unrolled: 2-line block ×6, first 2 shown]
	v_mul_f64 v[16:17], v[60:61], s[4:5]
	v_mul_f64 v[18:19], v[62:63], s[4:5]
	;; [unrolled: 1-line block ×12, first 2 shown]
	s_waitcnt vmcnt(0)
	v_mul_f64 v[86:87], v[116:117], v[38:39]
	v_mul_f64 v[88:89], v[116:117], v[36:37]
	s_delay_alu instid0(VALU_DEP_2) | instskip(NEXT) | instid1(VALU_DEP_2)
	v_fma_f64 v[82:83], v[114:115], v[36:37], v[86:87]
	v_fma_f64 v[84:85], v[114:115], v[38:39], -v[88:89]
	v_fma_f64 v[86:87], v[138:139], v[40:41], v[90:91]
	v_fma_f64 v[88:89], v[138:139], v[42:43], -v[92:93]
	v_add_co_u32 v90, s0, v102, s6
	s_delay_alu instid0(VALU_DEP_1) | instskip(SKIP_1) | instid1(VALU_DEP_3)
	v_add_co_ci_u32_e64 v91, s0, s7, v103, s0
	v_mul_f64 v[36:37], v[80:81], s[4:5]
	v_add_co_u32 v92, s0, v90, s2
	s_delay_alu instid0(VALU_DEP_1) | instskip(NEXT) | instid1(VALU_DEP_2)
	v_add_co_ci_u32_e64 v93, s0, s3, v91, s0
	v_add_co_u32 v94, s0, v92, s2
	s_delay_alu instid0(VALU_DEP_1) | instskip(NEXT) | instid1(VALU_DEP_2)
	v_add_co_ci_u32_e64 v95, s0, s3, v93, s0
	;; [unrolled: 3-line block ×5, first 2 shown]
	v_add_co_u32 v56, s0, v54, s6
	s_delay_alu instid0(VALU_DEP_1)
	v_add_co_ci_u32_e64 v57, s0, s7, v55, s0
	v_mul_f64 v[38:39], v[82:83], s[4:5]
	v_mul_f64 v[40:41], v[84:85], s[4:5]
	;; [unrolled: 1-line block ×4, first 2 shown]
	v_add_co_u32 v58, s0, v56, s2
	s_delay_alu instid0(VALU_DEP_1) | instskip(NEXT) | instid1(VALU_DEP_2)
	v_add_co_ci_u32_e64 v59, s0, s3, v57, s0
	v_add_co_u32 v0, s0, v58, s2
	s_delay_alu instid0(VALU_DEP_1)
	v_add_co_ci_u32_e64 v1, s0, s3, v59, s0
	s_clause 0x4
	global_store_b128 v[98:99], v[2:5], off
	global_store_b128 v[100:101], v[6:9], off
	;; [unrolled: 1-line block ×12, first 2 shown]
	s_and_b32 exec_lo, exec_lo, vcc_lo
	s_cbranch_execz .LBB0_23
; %bb.22:
	global_load_b128 v[2:5], v[132:133], off offset:3264
	ds_load_b128 v[6:9], v255 offset:3264
	ds_load_b128 v[10:13], v255 offset:7072
	s_waitcnt vmcnt(0) lgkmcnt(1)
	v_mul_f64 v[14:15], v[8:9], v[4:5]
	v_mul_f64 v[4:5], v[6:7], v[4:5]
	s_delay_alu instid0(VALU_DEP_2) | instskip(NEXT) | instid1(VALU_DEP_2)
	v_fma_f64 v[6:7], v[6:7], v[2:3], v[14:15]
	v_fma_f64 v[4:5], v[2:3], v[8:9], -v[4:5]
	s_delay_alu instid0(VALU_DEP_2)
	v_mul_f64 v[2:3], v[6:7], s[4:5]
	v_add_co_u32 v6, vcc_lo, v0, s6
	v_add_co_ci_u32_e32 v7, vcc_lo, s7, v1, vcc_lo
	scratch_load_b64 v[0:1], off, off offset:256 ; 8-byte Folded Reload
	v_mul_f64 v[4:5], v[4:5], s[4:5]
	v_add_co_u32 v8, vcc_lo, v6, s2
	v_add_co_ci_u32_e32 v9, vcc_lo, s3, v7, vcc_lo
	global_store_b128 v[6:7], v[2:5], off
	s_waitcnt vmcnt(0)
	global_load_b128 v[0:3], v[0:1], off offset:2976
	s_waitcnt vmcnt(0) lgkmcnt(0)
	v_mul_f64 v[4:5], v[12:13], v[2:3]
	v_mul_f64 v[2:3], v[10:11], v[2:3]
	s_delay_alu instid0(VALU_DEP_2) | instskip(NEXT) | instid1(VALU_DEP_2)
	v_fma_f64 v[4:5], v[10:11], v[0:1], v[4:5]
	v_fma_f64 v[2:3], v[0:1], v[12:13], -v[2:3]
	s_delay_alu instid0(VALU_DEP_2) | instskip(NEXT) | instid1(VALU_DEP_2)
	v_mul_f64 v[0:1], v[4:5], s[4:5]
	v_mul_f64 v[2:3], v[2:3], s[4:5]
	ds_load_b128 v[4:7], v255 offset:10880
	global_store_b128 v[8:9], v[0:3], off
	global_load_b128 v[0:3], v[134:135], off offset:2688
	s_waitcnt vmcnt(0) lgkmcnt(0)
	v_mul_f64 v[10:11], v[6:7], v[2:3]
	v_mul_f64 v[2:3], v[4:5], v[2:3]
	s_delay_alu instid0(VALU_DEP_2) | instskip(NEXT) | instid1(VALU_DEP_2)
	v_fma_f64 v[4:5], v[4:5], v[0:1], v[10:11]
	v_fma_f64 v[2:3], v[0:1], v[6:7], -v[2:3]
	s_delay_alu instid0(VALU_DEP_2) | instskip(NEXT) | instid1(VALU_DEP_2)
	v_mul_f64 v[0:1], v[4:5], s[4:5]
	v_mul_f64 v[2:3], v[2:3], s[4:5]
	v_add_co_u32 v4, vcc_lo, v8, s2
	v_add_co_ci_u32_e32 v5, vcc_lo, s3, v9, vcc_lo
	global_store_b128 v[4:5], v[0:3], off
.LBB0_23:
	s_nop 0
	s_sendmsg sendmsg(MSG_DEALLOC_VGPRS)
	s_endpgm
	.section	.rodata,"a",@progbits
	.p2align	6, 0x0
	.amdhsa_kernel bluestein_single_fwd_len714_dim1_dp_op_CI_CI
		.amdhsa_group_segment_fixed_size 11424
		.amdhsa_private_segment_fixed_size 772
		.amdhsa_kernarg_size 104
		.amdhsa_user_sgpr_count 15
		.amdhsa_user_sgpr_dispatch_ptr 0
		.amdhsa_user_sgpr_queue_ptr 0
		.amdhsa_user_sgpr_kernarg_segment_ptr 1
		.amdhsa_user_sgpr_dispatch_id 0
		.amdhsa_user_sgpr_private_segment_size 0
		.amdhsa_wavefront_size32 1
		.amdhsa_uses_dynamic_stack 0
		.amdhsa_enable_private_segment 1
		.amdhsa_system_sgpr_workgroup_id_x 1
		.amdhsa_system_sgpr_workgroup_id_y 0
		.amdhsa_system_sgpr_workgroup_id_z 0
		.amdhsa_system_sgpr_workgroup_info 0
		.amdhsa_system_vgpr_workitem_id 0
		.amdhsa_next_free_vgpr 256
		.amdhsa_next_free_sgpr 60
		.amdhsa_reserve_vcc 1
		.amdhsa_float_round_mode_32 0
		.amdhsa_float_round_mode_16_64 0
		.amdhsa_float_denorm_mode_32 3
		.amdhsa_float_denorm_mode_16_64 3
		.amdhsa_dx10_clamp 1
		.amdhsa_ieee_mode 1
		.amdhsa_fp16_overflow 0
		.amdhsa_workgroup_processor_mode 1
		.amdhsa_memory_ordered 1
		.amdhsa_forward_progress 0
		.amdhsa_shared_vgpr_count 0
		.amdhsa_exception_fp_ieee_invalid_op 0
		.amdhsa_exception_fp_denorm_src 0
		.amdhsa_exception_fp_ieee_div_zero 0
		.amdhsa_exception_fp_ieee_overflow 0
		.amdhsa_exception_fp_ieee_underflow 0
		.amdhsa_exception_fp_ieee_inexact 0
		.amdhsa_exception_int_div_zero 0
	.end_amdhsa_kernel
	.text
.Lfunc_end0:
	.size	bluestein_single_fwd_len714_dim1_dp_op_CI_CI, .Lfunc_end0-bluestein_single_fwd_len714_dim1_dp_op_CI_CI
                                        ; -- End function
	.section	.AMDGPU.csdata,"",@progbits
; Kernel info:
; codeLenInByte = 30864
; NumSgprs: 62
; NumVgprs: 256
; ScratchSize: 772
; MemoryBound: 0
; FloatMode: 240
; IeeeMode: 1
; LDSByteSize: 11424 bytes/workgroup (compile time only)
; SGPRBlocks: 7
; VGPRBlocks: 31
; NumSGPRsForWavesPerEU: 62
; NumVGPRsForWavesPerEU: 256
; Occupancy: 5
; WaveLimiterHint : 1
; COMPUTE_PGM_RSRC2:SCRATCH_EN: 1
; COMPUTE_PGM_RSRC2:USER_SGPR: 15
; COMPUTE_PGM_RSRC2:TRAP_HANDLER: 0
; COMPUTE_PGM_RSRC2:TGID_X_EN: 1
; COMPUTE_PGM_RSRC2:TGID_Y_EN: 0
; COMPUTE_PGM_RSRC2:TGID_Z_EN: 0
; COMPUTE_PGM_RSRC2:TIDIG_COMP_CNT: 0
	.text
	.p2alignl 7, 3214868480
	.fill 96, 4, 3214868480
	.type	__hip_cuid_f416c633d46ba019,@object ; @__hip_cuid_f416c633d46ba019
	.section	.bss,"aw",@nobits
	.globl	__hip_cuid_f416c633d46ba019
__hip_cuid_f416c633d46ba019:
	.byte	0                               ; 0x0
	.size	__hip_cuid_f416c633d46ba019, 1

	.ident	"AMD clang version 19.0.0git (https://github.com/RadeonOpenCompute/llvm-project roc-6.4.0 25133 c7fe45cf4b819c5991fe208aaa96edf142730f1d)"
	.section	".note.GNU-stack","",@progbits
	.addrsig
	.addrsig_sym __hip_cuid_f416c633d46ba019
	.amdgpu_metadata
---
amdhsa.kernels:
  - .args:
      - .actual_access:  read_only
        .address_space:  global
        .offset:         0
        .size:           8
        .value_kind:     global_buffer
      - .actual_access:  read_only
        .address_space:  global
        .offset:         8
        .size:           8
        .value_kind:     global_buffer
      - .actual_access:  read_only
        .address_space:  global
        .offset:         16
        .size:           8
        .value_kind:     global_buffer
      - .actual_access:  read_only
        .address_space:  global
        .offset:         24
        .size:           8
        .value_kind:     global_buffer
      - .actual_access:  read_only
        .address_space:  global
        .offset:         32
        .size:           8
        .value_kind:     global_buffer
      - .offset:         40
        .size:           8
        .value_kind:     by_value
      - .address_space:  global
        .offset:         48
        .size:           8
        .value_kind:     global_buffer
      - .address_space:  global
        .offset:         56
        .size:           8
        .value_kind:     global_buffer
      - .address_space:  global
        .offset:         64
        .size:           8
        .value_kind:     global_buffer
      - .address_space:  global
        .offset:         72
        .size:           8
        .value_kind:     global_buffer
      - .offset:         80
        .size:           4
        .value_kind:     by_value
      - .address_space:  global
        .offset:         88
        .size:           8
        .value_kind:     global_buffer
      - .address_space:  global
        .offset:         96
        .size:           8
        .value_kind:     global_buffer
    .group_segment_fixed_size: 11424
    .kernarg_segment_align: 8
    .kernarg_segment_size: 104
    .language:       OpenCL C
    .language_version:
      - 2
      - 0
    .max_flat_workgroup_size: 51
    .name:           bluestein_single_fwd_len714_dim1_dp_op_CI_CI
    .private_segment_fixed_size: 772
    .sgpr_count:     62
    .sgpr_spill_count: 0
    .symbol:         bluestein_single_fwd_len714_dim1_dp_op_CI_CI.kd
    .uniform_work_group_size: 1
    .uses_dynamic_stack: false
    .vgpr_count:     256
    .vgpr_spill_count: 307
    .wavefront_size: 32
    .workgroup_processor_mode: 1
amdhsa.target:   amdgcn-amd-amdhsa--gfx1100
amdhsa.version:
  - 1
  - 2
...

	.end_amdgpu_metadata
